;; amdgpu-corpus repo=ROCm/rocFFT kind=compiled arch=gfx906 opt=O3
	.text
	.amdgcn_target "amdgcn-amd-amdhsa--gfx906"
	.amdhsa_code_object_version 6
	.protected	fft_rtc_back_len1680_factors_2_2_2_2_3_7_5_wgs_112_tpt_112_halfLds_half_op_CI_CI_sbrr_dirReg ; -- Begin function fft_rtc_back_len1680_factors_2_2_2_2_3_7_5_wgs_112_tpt_112_halfLds_half_op_CI_CI_sbrr_dirReg
	.globl	fft_rtc_back_len1680_factors_2_2_2_2_3_7_5_wgs_112_tpt_112_halfLds_half_op_CI_CI_sbrr_dirReg
	.p2align	8
	.type	fft_rtc_back_len1680_factors_2_2_2_2_3_7_5_wgs_112_tpt_112_halfLds_half_op_CI_CI_sbrr_dirReg,@function
fft_rtc_back_len1680_factors_2_2_2_2_3_7_5_wgs_112_tpt_112_halfLds_half_op_CI_CI_sbrr_dirReg: ; @fft_rtc_back_len1680_factors_2_2_2_2_3_7_5_wgs_112_tpt_112_halfLds_half_op_CI_CI_sbrr_dirReg
; %bb.0:
	s_load_dwordx4 s[16:19], s[4:5], 0x18
	s_load_dwordx4 s[12:15], s[4:5], 0x0
	;; [unrolled: 1-line block ×3, first 2 shown]
	v_mul_u32_u24_e32 v1, 0x24a, v0
	v_mov_b32_e32 v7, 0
	s_waitcnt lgkmcnt(0)
	s_load_dwordx2 s[20:21], s[16:17], 0x0
	s_load_dwordx2 s[2:3], s[18:19], 0x0
	v_cmp_lt_u64_e64 s[0:1], s[14:15], 2
	v_mov_b32_e32 v5, 0
	v_add_u32_sdwa v9, s6, v1 dst_sel:DWORD dst_unused:UNUSED_PAD src0_sel:DWORD src1_sel:WORD_1
	v_mov_b32_e32 v10, v7
	s_and_b64 vcc, exec, s[0:1]
	v_mov_b32_e32 v6, 0
	s_cbranch_vccnz .LBB0_8
; %bb.1:
	s_load_dwordx2 s[0:1], s[4:5], 0x10
	s_add_u32 s6, s18, 8
	s_addc_u32 s7, s19, 0
	s_add_u32 s22, s16, 8
	s_addc_u32 s23, s17, 0
	v_mov_b32_e32 v5, 0
	s_waitcnt lgkmcnt(0)
	s_add_u32 s24, s0, 8
	v_mov_b32_e32 v6, 0
	v_mov_b32_e32 v1, v5
	s_addc_u32 s25, s1, 0
	s_mov_b64 s[26:27], 1
	v_mov_b32_e32 v2, v6
.LBB0_2:                                ; =>This Inner Loop Header: Depth=1
	s_load_dwordx2 s[28:29], s[24:25], 0x0
                                        ; implicit-def: $vgpr3_vgpr4
	s_waitcnt lgkmcnt(0)
	v_or_b32_e32 v8, s29, v10
	v_cmp_ne_u64_e32 vcc, 0, v[7:8]
	s_and_saveexec_b64 s[0:1], vcc
	s_xor_b64 s[30:31], exec, s[0:1]
	s_cbranch_execz .LBB0_4
; %bb.3:                                ;   in Loop: Header=BB0_2 Depth=1
	v_cvt_f32_u32_e32 v3, s28
	v_cvt_f32_u32_e32 v4, s29
	s_sub_u32 s0, 0, s28
	s_subb_u32 s1, 0, s29
	v_mac_f32_e32 v3, 0x4f800000, v4
	v_rcp_f32_e32 v3, v3
	v_mul_f32_e32 v3, 0x5f7ffffc, v3
	v_mul_f32_e32 v4, 0x2f800000, v3
	v_trunc_f32_e32 v4, v4
	v_mac_f32_e32 v3, 0xcf800000, v4
	v_cvt_u32_f32_e32 v4, v4
	v_cvt_u32_f32_e32 v3, v3
	v_mul_lo_u32 v8, s0, v4
	v_mul_hi_u32 v11, s0, v3
	v_mul_lo_u32 v13, s1, v3
	v_mul_lo_u32 v12, s0, v3
	v_add_u32_e32 v8, v11, v8
	v_add_u32_e32 v8, v8, v13
	v_mul_hi_u32 v11, v3, v12
	v_mul_lo_u32 v13, v3, v8
	v_mul_hi_u32 v15, v3, v8
	v_mul_hi_u32 v14, v4, v12
	v_mul_lo_u32 v12, v4, v12
	v_mul_hi_u32 v16, v4, v8
	v_add_co_u32_e32 v11, vcc, v11, v13
	v_addc_co_u32_e32 v13, vcc, 0, v15, vcc
	v_mul_lo_u32 v8, v4, v8
	v_add_co_u32_e32 v11, vcc, v11, v12
	v_addc_co_u32_e32 v11, vcc, v13, v14, vcc
	v_addc_co_u32_e32 v12, vcc, 0, v16, vcc
	v_add_co_u32_e32 v8, vcc, v11, v8
	v_addc_co_u32_e32 v11, vcc, 0, v12, vcc
	v_add_co_u32_e32 v3, vcc, v3, v8
	v_addc_co_u32_e32 v4, vcc, v4, v11, vcc
	v_mul_lo_u32 v8, s0, v4
	v_mul_hi_u32 v11, s0, v3
	v_mul_lo_u32 v12, s1, v3
	v_mul_lo_u32 v13, s0, v3
	v_add_u32_e32 v8, v11, v8
	v_add_u32_e32 v8, v8, v12
	v_mul_lo_u32 v14, v3, v8
	v_mul_hi_u32 v15, v3, v13
	v_mul_hi_u32 v16, v3, v8
	;; [unrolled: 1-line block ×3, first 2 shown]
	v_mul_lo_u32 v13, v4, v13
	v_mul_hi_u32 v11, v4, v8
	v_add_co_u32_e32 v14, vcc, v15, v14
	v_addc_co_u32_e32 v15, vcc, 0, v16, vcc
	v_mul_lo_u32 v8, v4, v8
	v_add_co_u32_e32 v13, vcc, v14, v13
	v_addc_co_u32_e32 v12, vcc, v15, v12, vcc
	v_addc_co_u32_e32 v11, vcc, 0, v11, vcc
	v_add_co_u32_e32 v8, vcc, v12, v8
	v_addc_co_u32_e32 v11, vcc, 0, v11, vcc
	v_add_co_u32_e32 v8, vcc, v3, v8
	v_addc_co_u32_e32 v11, vcc, v4, v11, vcc
	v_mad_u64_u32 v[3:4], s[0:1], v9, v11, 0
	v_mul_hi_u32 v12, v9, v8
	v_add_co_u32_e32 v13, vcc, v12, v3
	v_addc_co_u32_e32 v14, vcc, 0, v4, vcc
	v_mad_u64_u32 v[3:4], s[0:1], v10, v8, 0
	v_mad_u64_u32 v[11:12], s[0:1], v10, v11, 0
	v_add_co_u32_e32 v3, vcc, v13, v3
	v_addc_co_u32_e32 v3, vcc, v14, v4, vcc
	v_addc_co_u32_e32 v4, vcc, 0, v12, vcc
	v_add_co_u32_e32 v8, vcc, v3, v11
	v_addc_co_u32_e32 v11, vcc, 0, v4, vcc
	v_mul_lo_u32 v12, s29, v8
	v_mul_lo_u32 v13, s28, v11
	v_mad_u64_u32 v[3:4], s[0:1], s28, v8, 0
	v_add3_u32 v4, v4, v13, v12
	v_sub_u32_e32 v12, v10, v4
	v_mov_b32_e32 v13, s29
	v_sub_co_u32_e32 v3, vcc, v9, v3
	v_subb_co_u32_e64 v12, s[0:1], v12, v13, vcc
	v_subrev_co_u32_e64 v13, s[0:1], s28, v3
	v_subbrev_co_u32_e64 v12, s[0:1], 0, v12, s[0:1]
	v_cmp_le_u32_e64 s[0:1], s29, v12
	v_cndmask_b32_e64 v14, 0, -1, s[0:1]
	v_cmp_le_u32_e64 s[0:1], s28, v13
	v_cndmask_b32_e64 v13, 0, -1, s[0:1]
	v_cmp_eq_u32_e64 s[0:1], s29, v12
	v_cndmask_b32_e64 v12, v14, v13, s[0:1]
	v_add_co_u32_e64 v13, s[0:1], 2, v8
	v_addc_co_u32_e64 v14, s[0:1], 0, v11, s[0:1]
	v_add_co_u32_e64 v15, s[0:1], 1, v8
	v_addc_co_u32_e64 v16, s[0:1], 0, v11, s[0:1]
	v_subb_co_u32_e32 v4, vcc, v10, v4, vcc
	v_cmp_ne_u32_e64 s[0:1], 0, v12
	v_cmp_le_u32_e32 vcc, s29, v4
	v_cndmask_b32_e64 v12, v16, v14, s[0:1]
	v_cndmask_b32_e64 v14, 0, -1, vcc
	v_cmp_le_u32_e32 vcc, s28, v3
	v_cndmask_b32_e64 v3, 0, -1, vcc
	v_cmp_eq_u32_e32 vcc, s29, v4
	v_cndmask_b32_e32 v3, v14, v3, vcc
	v_cmp_ne_u32_e32 vcc, 0, v3
	v_cndmask_b32_e64 v3, v15, v13, s[0:1]
	v_cndmask_b32_e32 v4, v11, v12, vcc
	v_cndmask_b32_e32 v3, v8, v3, vcc
.LBB0_4:                                ;   in Loop: Header=BB0_2 Depth=1
	s_andn2_saveexec_b64 s[0:1], s[30:31]
	s_cbranch_execz .LBB0_6
; %bb.5:                                ;   in Loop: Header=BB0_2 Depth=1
	v_cvt_f32_u32_e32 v3, s28
	s_sub_i32 s30, 0, s28
	v_rcp_iflag_f32_e32 v3, v3
	v_mul_f32_e32 v3, 0x4f7ffffe, v3
	v_cvt_u32_f32_e32 v3, v3
	v_mul_lo_u32 v4, s30, v3
	v_mul_hi_u32 v4, v3, v4
	v_add_u32_e32 v3, v3, v4
	v_mul_hi_u32 v3, v9, v3
	v_mul_lo_u32 v4, v3, s28
	v_add_u32_e32 v8, 1, v3
	v_sub_u32_e32 v4, v9, v4
	v_subrev_u32_e32 v11, s28, v4
	v_cmp_le_u32_e32 vcc, s28, v4
	v_cndmask_b32_e32 v4, v4, v11, vcc
	v_cndmask_b32_e32 v3, v3, v8, vcc
	v_add_u32_e32 v8, 1, v3
	v_cmp_le_u32_e32 vcc, s28, v4
	v_cndmask_b32_e32 v3, v3, v8, vcc
	v_mov_b32_e32 v4, v7
.LBB0_6:                                ;   in Loop: Header=BB0_2 Depth=1
	s_or_b64 exec, exec, s[0:1]
	v_mul_lo_u32 v8, v4, s28
	v_mul_lo_u32 v13, v3, s29
	v_mad_u64_u32 v[11:12], s[0:1], v3, s28, 0
	s_load_dwordx2 s[0:1], s[22:23], 0x0
	s_load_dwordx2 s[28:29], s[6:7], 0x0
	v_add3_u32 v8, v12, v13, v8
	v_sub_co_u32_e32 v9, vcc, v9, v11
	v_subb_co_u32_e32 v8, vcc, v10, v8, vcc
	s_waitcnt lgkmcnt(0)
	v_mul_lo_u32 v10, s0, v8
	v_mul_lo_u32 v11, s1, v9
	v_mad_u64_u32 v[5:6], s[0:1], s0, v9, v[5:6]
	v_mul_lo_u32 v8, s28, v8
	v_mul_lo_u32 v12, s29, v9
	v_mad_u64_u32 v[1:2], s[0:1], s28, v9, v[1:2]
	s_add_u32 s26, s26, 1
	s_addc_u32 s27, s27, 0
	s_add_u32 s6, s6, 8
	v_add3_u32 v2, v12, v2, v8
	s_addc_u32 s7, s7, 0
	v_mov_b32_e32 v8, s14
	s_add_u32 s22, s22, 8
	v_mov_b32_e32 v9, s15
	s_addc_u32 s23, s23, 0
	v_cmp_ge_u64_e32 vcc, s[26:27], v[8:9]
	s_add_u32 s24, s24, 8
	v_add3_u32 v6, v11, v6, v10
	s_addc_u32 s25, s25, 0
	s_cbranch_vccnz .LBB0_9
; %bb.7:                                ;   in Loop: Header=BB0_2 Depth=1
	v_mov_b32_e32 v10, v4
	v_mov_b32_e32 v9, v3
	s_branch .LBB0_2
.LBB0_8:
	v_mov_b32_e32 v1, v5
	v_mov_b32_e32 v3, v9
	;; [unrolled: 1-line block ×4, first 2 shown]
.LBB0_9:
	s_load_dwordx2 s[0:1], s[4:5], 0x28
	s_lshl_b64 s[14:15], s[14:15], 3
	s_add_u32 s4, s18, s14
	s_addc_u32 s5, s19, s15
                                        ; implicit-def: $vgpr7
                                        ; implicit-def: $vgpr8
                                        ; implicit-def: $vgpr9
                                        ; implicit-def: $vgpr12
                                        ; implicit-def: $vgpr13
                                        ; implicit-def: $vgpr10
                                        ; implicit-def: $vgpr11
	s_waitcnt lgkmcnt(0)
	v_cmp_gt_u64_e32 vcc, s[0:1], v[3:4]
	v_cmp_le_u64_e64 s[0:1], s[0:1], v[3:4]
	s_and_saveexec_b64 s[6:7], s[0:1]
	s_xor_b64 s[0:1], exec, s[6:7]
; %bb.10:
	s_mov_b32 s6, 0x2492493
	v_mul_hi_u32 v5, v0, s6
	v_mul_u32_u24_e32 v5, 0x70, v5
	v_sub_u32_e32 v7, v0, v5
	v_add_u32_e32 v8, 0x70, v7
	v_add_u32_e32 v9, 0xe0, v7
	;; [unrolled: 1-line block ×6, first 2 shown]
                                        ; implicit-def: $vgpr0
                                        ; implicit-def: $vgpr5_vgpr6
; %bb.11:
	s_or_saveexec_b64 s[6:7], s[0:1]
	s_load_dwordx2 s[4:5], s[4:5], 0x0
                                        ; implicit-def: $vgpr30
                                        ; implicit-def: $vgpr14
                                        ; implicit-def: $vgpr32
                                        ; implicit-def: $vgpr15
                                        ; implicit-def: $vgpr34
                                        ; implicit-def: $vgpr16
                                        ; implicit-def: $vgpr36
                                        ; implicit-def: $vgpr17
                                        ; implicit-def: $vgpr38
                                        ; implicit-def: $vgpr18
                                        ; implicit-def: $vgpr40
                                        ; implicit-def: $vgpr19
                                        ; implicit-def: $vgpr41
                                        ; implicit-def: $vgpr20
                                        ; implicit-def: $vgpr43
                                        ; implicit-def: $vgpr21
                                        ; implicit-def: $vgpr49
                                        ; implicit-def: $vgpr22
                                        ; implicit-def: $vgpr50
                                        ; implicit-def: $vgpr23
                                        ; implicit-def: $vgpr51
                                        ; implicit-def: $vgpr24
                                        ; implicit-def: $vgpr52
                                        ; implicit-def: $vgpr25
                                        ; implicit-def: $vgpr53
                                        ; implicit-def: $vgpr27
                                        ; implicit-def: $vgpr54
                                        ; implicit-def: $vgpr29
                                        ; implicit-def: $vgpr26
                                        ; implicit-def: $vgpr31
                                        ; implicit-def: $vgpr28
                                        ; implicit-def: $vgpr33
	s_xor_b64 exec, exec, s[6:7]
	s_cbranch_execz .LBB0_15
; %bb.12:
	s_add_u32 s0, s16, s14
	s_mov_b32 s14, 0x2492493
	v_mul_hi_u32 v7, v0, s14
	s_addc_u32 s1, s17, s15
	s_load_dwordx2 s[0:1], s[0:1], 0x0
	v_lshlrev_b64 v[5:6], 2, v[5:6]
	v_mul_u32_u24_e32 v7, 0x70, v7
	v_sub_u32_e32 v7, v0, v7
	v_mad_u64_u32 v[8:9], s[14:15], s20, v7, 0
	s_waitcnt lgkmcnt(0)
	v_mul_lo_u32 v14, s1, v3
	v_mul_lo_u32 v15, s0, v4
	v_mad_u64_u32 v[10:11], s[0:1], s0, v3, 0
	v_mov_b32_e32 v0, v9
	v_mad_u64_u32 v[12:13], s[0:1], s21, v7, v[0:1]
	v_add3_u32 v11, v11, v15, v14
	v_lshlrev_b64 v[10:11], 2, v[10:11]
	v_mov_b32_e32 v9, v12
	v_mov_b32_e32 v0, s9
	v_add_co_u32_e64 v12, s[0:1], s8, v10
	v_add_u32_e32 v14, 0x348, v7
	v_addc_co_u32_e64 v13, s[0:1], v0, v11, s[0:1]
	v_mad_u64_u32 v[10:11], s[0:1], s20, v14, 0
	v_add_co_u32_e64 v0, s[0:1], v12, v5
	v_addc_co_u32_e64 v5, s[0:1], v13, v6, s[0:1]
	v_mov_b32_e32 v6, v11
	v_lshlrev_b64 v[12:13], 2, v[8:9]
	v_mad_u64_u32 v[14:15], s[0:1], s21, v14, v[6:7]
	v_add_u32_e32 v8, 0x70, v7
	v_mad_u64_u32 v[15:16], s[0:1], s20, v8, 0
	v_add_co_u32_e64 v22, s[0:1], v0, v12
	v_mov_b32_e32 v11, v14
	v_mov_b32_e32 v6, v16
	v_addc_co_u32_e64 v23, s[0:1], v5, v13, s[0:1]
	v_lshlrev_b64 v[9:10], 2, v[10:11]
	v_mad_u64_u32 v[11:12], s[0:1], s21, v8, v[6:7]
	v_add_u32_e32 v14, 0x3b8, v7
	v_mad_u64_u32 v[12:13], s[0:1], s20, v14, 0
	v_add_co_u32_e64 v24, s[0:1], v0, v9
	v_mov_b32_e32 v6, v13
	v_addc_co_u32_e64 v25, s[0:1], v5, v10, s[0:1]
	v_mov_b32_e32 v16, v11
	v_mad_u64_u32 v[13:14], s[0:1], s21, v14, v[6:7]
	v_add_u32_e32 v9, 0xe0, v7
	v_lshlrev_b64 v[10:11], 2, v[15:16]
	v_mad_u64_u32 v[14:15], s[0:1], s20, v9, 0
	v_add_co_u32_e64 v10, s[0:1], v0, v10
	v_mov_b32_e32 v6, v15
	v_addc_co_u32_e64 v11, s[0:1], v5, v11, s[0:1]
	v_mad_u64_u32 v[15:16], s[0:1], s21, v9, v[6:7]
	v_add_u32_e32 v18, 0x428, v7
	v_mad_u64_u32 v[16:17], s[0:1], s20, v18, 0
	v_lshlrev_b64 v[12:13], 2, v[12:13]
	v_add_u32_e32 v20, 0x498, v7
	v_add_co_u32_e64 v26, s[0:1], v0, v12
	v_mov_b32_e32 v6, v17
	v_addc_co_u32_e64 v27, s[0:1], v5, v13, s[0:1]
	v_mad_u64_u32 v[17:18], s[0:1], s21, v18, v[6:7]
	v_add_u32_e32 v12, 0x150, v7
	v_mad_u64_u32 v[18:19], s[0:1], s20, v12, 0
	v_lshlrev_b64 v[13:14], 2, v[14:15]
	v_add_u32_e32 v41, 0x508, v7
	v_add_co_u32_e64 v28, s[0:1], v0, v13
	v_mov_b32_e32 v6, v19
	v_addc_co_u32_e64 v29, s[0:1], v5, v14, s[0:1]
	v_lshlrev_b64 v[13:14], 2, v[16:17]
	v_mad_u64_u32 v[15:16], s[0:1], s21, v12, v[6:7]
	v_mad_u64_u32 v[16:17], s[0:1], s20, v20, 0
	v_add_co_u32_e64 v30, s[0:1], v0, v13
	v_mov_b32_e32 v19, v15
	v_addc_co_u32_e64 v31, s[0:1], v5, v14, s[0:1]
	v_lshlrev_b64 v[13:14], 2, v[18:19]
	v_mov_b32_e32 v6, v17
	v_mad_u64_u32 v[17:18], s[0:1], s21, v20, v[6:7]
	v_add_co_u32_e64 v32, s[0:1], v0, v13
	v_add_u32_e32 v13, 0x1c0, v7
	v_addc_co_u32_e64 v33, s[0:1], v5, v14, s[0:1]
	v_mad_u64_u32 v[34:35], s[0:1], s20, v13, 0
	v_lshlrev_b64 v[14:15], 2, v[16:17]
	v_add_co_u32_e64 v36, s[0:1], v0, v14
	v_mov_b32_e32 v6, v35
	v_addc_co_u32_e64 v37, s[0:1], v5, v15, s[0:1]
	v_mad_u64_u32 v[38:39], s[0:1], s21, v13, v[6:7]
	v_mad_u64_u32 v[39:40], s[0:1], s20, v41, 0
	global_load_dword v14, v[22:23], off
	global_load_dword v15, v[24:25], off
	;; [unrolled: 1-line block ×8, first 2 shown]
	v_add_u32_e32 v10, 0x230, v7
	v_mov_b32_e32 v6, v40
	v_mad_u64_u32 v[24:25], s[0:1], s21, v41, v[6:7]
	v_mad_u64_u32 v[25:26], s[0:1], s20, v10, 0
	v_mov_b32_e32 v35, v38
	v_lshlrev_b64 v[22:23], 2, v[34:35]
	v_mov_b32_e32 v6, v26
	v_add_co_u32_e64 v30, s[0:1], v0, v22
	v_addc_co_u32_e64 v31, s[0:1], v5, v23, s[0:1]
	v_mad_u64_u32 v[26:27], s[0:1], s21, v10, v[6:7]
	v_add_u32_e32 v11, 0x578, v7
	v_mad_u64_u32 v[27:28], s[0:1], s20, v11, 0
	v_mov_b32_e32 v40, v24
	v_lshlrev_b64 v[22:23], 2, v[39:40]
	v_mov_b32_e32 v6, v28
	v_add_co_u32_e64 v32, s[0:1], v0, v22
	v_addc_co_u32_e64 v33, s[0:1], v5, v23, s[0:1]
	v_lshlrev_b64 v[22:23], 2, v[25:26]
	v_mad_u64_u32 v[24:25], s[0:1], s21, v11, v[6:7]
	v_add_u32_e32 v11, 0x2a0, v7
	v_mad_u64_u32 v[25:26], s[0:1], s20, v11, 0
	v_add_co_u32_e64 v34, s[0:1], v0, v22
	v_mov_b32_e32 v28, v24
	v_mov_b32_e32 v6, v26
	v_addc_co_u32_e64 v35, s[0:1], v5, v23, s[0:1]
	v_lshlrev_b64 v[22:23], 2, v[27:28]
	v_mad_u64_u32 v[26:27], s[0:1], s21, v11, v[6:7]
	v_add_u32_e32 v24, 0x5e8, v7
	v_mad_u64_u32 v[27:28], s[0:1], s20, v24, 0
	v_add_co_u32_e64 v36, s[0:1], v0, v22
	v_mov_b32_e32 v6, v28
	v_addc_co_u32_e64 v37, s[0:1], v5, v23, s[0:1]
	v_lshlrev_b64 v[22:23], 2, v[25:26]
	v_mad_u64_u32 v[24:25], s[0:1], s21, v24, v[6:7]
	v_add_co_u32_e64 v38, s[0:1], v0, v22
	v_mov_b32_e32 v28, v24
	v_addc_co_u32_e64 v39, s[0:1], v5, v23, s[0:1]
	v_lshlrev_b64 v[22:23], 2, v[27:28]
                                        ; implicit-def: $vgpr28
                                        ; implicit-def: $vgpr26
	v_add_co_u32_e64 v40, s[0:1], v0, v22
	v_addc_co_u32_e64 v41, s[0:1], v5, v23, s[0:1]
	global_load_dword v22, v[30:31], off
	global_load_dword v23, v[32:33], off
	;; [unrolled: 1-line block ×6, first 2 shown]
	v_cmp_gt_u32_e64 s[0:1], 56, v7
                                        ; implicit-def: $vgpr33
                                        ; implicit-def: $vgpr31
	s_and_saveexec_b64 s[8:9], s[0:1]
	s_cbranch_execz .LBB0_14
; %bb.13:
	v_add_u32_e32 v26, 0x310, v7
	v_mad_u64_u32 v[30:31], s[0:1], s20, v26, 0
	v_add_u32_e32 v28, 0x658, v7
	v_mad_u64_u32 v[32:33], s[0:1], s20, v28, 0
	v_mov_b32_e32 v6, v31
	v_mad_u64_u32 v[34:35], s[0:1], s21, v26, v[6:7]
	v_mov_b32_e32 v6, v33
	v_mov_b32_e32 v31, v34
	v_mad_u64_u32 v[33:34], s[0:1], s21, v28, v[6:7]
	v_lshlrev_b64 v[30:31], 2, v[30:31]
	v_add_co_u32_e64 v34, s[0:1], v0, v30
	v_addc_co_u32_e64 v35, s[0:1], v5, v31, s[0:1]
	v_lshlrev_b64 v[30:31], 2, v[32:33]
	v_add_co_u32_e64 v36, s[0:1], v0, v30
	v_addc_co_u32_e64 v37, s[0:1], v5, v31, s[0:1]
	global_load_dword v31, v[34:35], off
	global_load_dword v33, v[36:37], off
	s_waitcnt vmcnt(1)
	v_lshrrev_b32_e32 v26, 16, v31
	s_waitcnt vmcnt(0)
	v_lshrrev_b32_e32 v28, 16, v33
.LBB0_14:
	s_or_b64 exec, exec, s[8:9]
	s_waitcnt vmcnt(13)
	v_lshrrev_b32_e32 v30, 16, v14
	s_waitcnt vmcnt(12)
	v_lshrrev_b32_e32 v32, 16, v15
	;; [unrolled: 2-line block ×14, first 2 shown]
.LBB0_15:
	s_or_b64 exec, exec, s[6:7]
	v_sub_f16_e32 v0, v14, v15
	v_fma_f16 v5, v14, 2.0, -v0
	v_sub_f16_e32 v6, v16, v17
	v_fma_f16 v15, v16, 2.0, -v6
	v_sub_f16_e32 v16, v18, v19
	v_lshl_add_u32 v56, v7, 2, 0
	v_pack_b32_f16 v0, v5, v0
	v_fma_f16 v35, v18, 2.0, -v16
	v_sub_f16_e32 v21, v20, v21
	ds_write_b32 v56, v0
	v_lshl_add_u32 v5, v8, 2, 0
	v_pack_b32_f16 v0, v15, v6
	v_fma_f16 v37, v20, 2.0, -v21
	v_sub_f16_e32 v23, v22, v23
	ds_write_b32 v5, v0
	;; [unrolled: 5-line block ×5, first 2 shown]
	v_lshl_add_u32 v55, v10, 2, 0
	v_pack_b32_f16 v0, v24, v39
	v_add_u32_e32 v24, 0x310, v7
	v_fma_f16 v14, v31, 2.0, -v25
	v_lshlrev_b32_e32 v17, 1, v7
	v_lshlrev_b32_e32 v18, 1, v8
	;; [unrolled: 1-line block ×6, first 2 shown]
	ds_write_b32 v55, v0
	v_lshlrev_b32_e32 v23, 1, v11
	v_lshl_add_u32 v11, v11, 2, 0
	v_pack_b32_f16 v0, v27, v29
	v_cmp_gt_u32_e64 s[0:1], 56, v7
	v_lshl_add_u32 v10, v24, 2, 0
	ds_write_b32 v11, v0
	s_and_saveexec_b64 s[6:7], s[0:1]
	s_cbranch_execz .LBB0_17
; %bb.16:
	s_mov_b32 s8, 0x5040100
	v_perm_b32 v0, v25, v14, s8
	ds_write_b32 v10, v0
.LBB0_17:
	s_or_b64 exec, exec, s[6:7]
	v_sub_u32_e32 v27, v5, v18
	v_sub_u32_e32 v29, v6, v19
	;; [unrolled: 1-line block ×6, first 2 shown]
	s_waitcnt lgkmcnt(0)
	s_barrier
	v_sub_u32_e32 v0, v56, v17
	ds_read_u16 v42, v27
	ds_read_u16 v44, v29
	;; [unrolled: 1-line block ×7, first 2 shown]
	ds_read_u16 v39, v0 offset:1680
	ds_read_u16 v37, v0 offset:1904
	;; [unrolled: 1-line block ×7, first 2 shown]
	s_and_saveexec_b64 s[6:7], s[0:1]
	s_cbranch_execz .LBB0_19
; %bb.18:
	ds_read_u16 v14, v0 offset:1568
	ds_read_u16 v25, v0 offset:3248
.LBB0_19:
	s_or_b64 exec, exec, s[6:7]
	v_sub_f16_e32 v32, v30, v32
	v_fma_f16 v30, v30, 2.0, -v32
	v_sub_f16_e32 v36, v34, v36
	v_sub_f16_e32 v64, v41, v43
	;; [unrolled: 1-line block ×3, first 2 shown]
	v_fma_f16 v34, v34, 2.0, -v36
	v_sub_f16_e32 v40, v38, v40
	v_fma_f16 v65, v41, 2.0, -v64
	v_fma_f16 v41, v26, 2.0, -v43
	v_pack_b32_f16 v26, v30, v32
	v_fma_f16 v38, v38, 2.0, -v40
	s_waitcnt lgkmcnt(0)
	s_barrier
	ds_write_b32 v56, v26
	v_pack_b32_f16 v26, v34, v36
	v_sub_f16_e32 v50, v49, v50
	ds_write_b32 v5, v26
	v_pack_b32_f16 v26, v38, v40
	v_fma_f16 v49, v49, 2.0, -v50
	v_sub_f16_e32 v52, v51, v52
	ds_write_b32 v6, v26
	v_pack_b32_f16 v26, v65, v64
	v_fma_f16 v51, v51, 2.0, -v52
	;; [unrolled: 4-line block ×3, first 2 shown]
	ds_write_b32 v16, v26
	v_pack_b32_f16 v26, v51, v52
	v_sub_u32_e32 v63, 0, v18
	v_sub_u32_e32 v62, 0, v19
	;; [unrolled: 1-line block ×6, first 2 shown]
	ds_write_b32 v55, v26
	v_pack_b32_f16 v26, v53, v54
	ds_write_b32 v11, v26
	s_and_saveexec_b64 s[6:7], s[0:1]
	s_cbranch_execz .LBB0_21
; %bb.20:
	s_mov_b32 s8, 0x5040100
	v_perm_b32 v26, v43, v41, s8
	ds_write_b32 v10, v26
.LBB0_21:
	s_or_b64 exec, exec, s[6:7]
	v_add_u32_e32 v5, v5, v63
	s_waitcnt lgkmcnt(0)
	s_barrier
	v_add_u32_e32 v6, v6, v62
	v_add_u32_e32 v10, v15, v61
	;; [unrolled: 1-line block ×5, first 2 shown]
	ds_read_u16 v56, v5
	ds_read_u16 v55, v6
	ds_read_u16 v54, v10
	ds_read_u16 v53, v15
	ds_read_u16 v52, v16
	ds_read_u16 v51, v11
	ds_read_u16 v58, v0
	ds_read_u16 v65, v0 offset:1680
	ds_read_u16 v64, v0 offset:1904
	;; [unrolled: 1-line block ×7, first 2 shown]
	s_and_saveexec_b64 s[6:7], s[0:1]
	s_cbranch_execz .LBB0_23
; %bb.22:
	ds_read_u16 v41, v0 offset:1568
	ds_read_u16 v43, v0 offset:3248
.LBB0_23:
	s_or_b64 exec, exec, s[6:7]
	v_and_b32_e32 v50, 1, v7
	v_lshlrev_b32_e32 v26, 2, v50
	global_load_dword v66, v26, s[12:13]
	s_movk_i32 s6, 0xfc
	s_movk_i32 s7, 0x1fc
	;; [unrolled: 1-line block ×5, first 2 shown]
	v_and_or_b32 v26, v17, s6, v50
	v_and_or_b32 v28, v18, s7, v50
	;; [unrolled: 1-line block ×7, first 2 shown]
	v_lshl_add_u32 v73, v26, 1, 0
	v_lshl_add_u32 v72, v28, 1, 0
	;; [unrolled: 1-line block ×7, first 2 shown]
	v_lshlrev_b32_e32 v24, 1, v24
	s_waitcnt vmcnt(0) lgkmcnt(0)
	s_barrier
	v_mul_f16_sdwa v26, v65, v66 dst_sel:DWORD dst_unused:UNUSED_PAD src0_sel:DWORD src1_sel:WORD_1
	v_mul_f16_sdwa v28, v64, v66 dst_sel:DWORD dst_unused:UNUSED_PAD src0_sel:DWORD src1_sel:WORD_1
	;; [unrolled: 1-line block ×8, first 2 shown]
	v_fma_f16 v26, v39, v66, v26
	v_fma_f16 v28, v37, v66, v28
	;; [unrolled: 1-line block ×8, first 2 shown]
	v_sub_f16_e32 v49, v57, v26
	v_sub_f16_e32 v28, v42, v28
	;; [unrolled: 1-line block ×8, first 2 shown]
	v_fma_f16 v40, v57, 2.0, -v49
	v_fma_f16 v57, v42, 2.0, -v28
	;; [unrolled: 1-line block ×8, first 2 shown]
	ds_write_b16 v73, v49 offset:4
	ds_write_b16 v73, v40
	ds_write_b16 v72, v57
	ds_write_b16 v72, v28 offset:4
	ds_write_b16 v71, v44
	ds_write_b16 v71, v30 offset:4
	;; [unrolled: 2-line block ×6, first 2 shown]
	s_and_saveexec_b64 s[6:7], s[0:1]
	s_cbranch_execz .LBB0_25
; %bb.24:
	s_movk_i32 s8, 0x6fc
	v_and_or_b32 v14, v24, s8, v50
	v_lshl_add_u32 v14, v14, 1, 0
	ds_write_b16 v14, v42
	ds_write_b16 v14, v26 offset:4
.LBB0_25:
	s_or_b64 exec, exec, s[6:7]
	s_waitcnt lgkmcnt(0)
	s_barrier
	ds_read_u16 v44, v5
	ds_read_u16 v45, v6
	;; [unrolled: 1-line block ×7, first 2 shown]
	ds_read_u16 v40, v0 offset:1680
	ds_read_u16 v38, v0 offset:1904
	ds_read_u16 v36, v0 offset:2128
	ds_read_u16 v34, v0 offset:2352
	ds_read_u16 v32, v0 offset:2576
	ds_read_u16 v30, v0 offset:2800
	ds_read_u16 v28, v0 offset:3024
	v_lshl_add_u32 v14, v7, 1, 0
	s_and_saveexec_b64 s[6:7], s[0:1]
	s_cbranch_execz .LBB0_27
; %bb.26:
	ds_read_u16 v42, v14 offset:1568
	ds_read_u16 v26, v0 offset:3248
.LBB0_27:
	s_or_b64 exec, exec, s[6:7]
	v_mul_f16_sdwa v39, v39, v66 dst_sel:DWORD dst_unused:UNUSED_PAD src0_sel:DWORD src1_sel:WORD_1
	v_mul_f16_sdwa v25, v25, v66 dst_sel:DWORD dst_unused:UNUSED_PAD src0_sel:DWORD src1_sel:WORD_1
	v_fma_f16 v39, v65, v66, -v39
	v_mul_f16_sdwa v37, v37, v66 dst_sel:DWORD dst_unused:UNUSED_PAD src0_sel:DWORD src1_sel:WORD_1
	v_mul_f16_sdwa v35, v35, v66 dst_sel:DWORD dst_unused:UNUSED_PAD src0_sel:DWORD src1_sel:WORD_1
	;; [unrolled: 1-line block ×6, first 2 shown]
	v_fma_f16 v25, v43, v66, -v25
	v_fma_f16 v37, v64, v66, -v37
	;; [unrolled: 1-line block ×7, first 2 shown]
	v_sub_f16_e32 v39, v58, v39
	v_sub_f16_e32 v43, v41, v25
	v_fma_f16 v58, v58, 2.0, -v39
	v_sub_f16_e32 v37, v56, v37
	v_sub_f16_e32 v35, v55, v35
	;; [unrolled: 1-line block ×6, first 2 shown]
	v_fma_f16 v29, v41, 2.0, -v43
	v_fma_f16 v56, v56, 2.0, -v37
	;; [unrolled: 1-line block ×7, first 2 shown]
	s_waitcnt lgkmcnt(0)
	s_barrier
	ds_write_b16 v73, v58
	ds_write_b16 v73, v39 offset:4
	ds_write_b16 v72, v56
	ds_write_b16 v72, v37 offset:4
	;; [unrolled: 2-line block ×7, first 2 shown]
	s_and_saveexec_b64 s[6:7], s[0:1]
	s_cbranch_execz .LBB0_29
; %bb.28:
	s_movk_i32 s8, 0x6fc
	v_and_or_b32 v25, v24, s8, v50
	v_lshl_add_u32 v25, v25, 1, 0
	ds_write_b16 v25, v29
	ds_write_b16 v25, v43 offset:4
.LBB0_29:
	s_or_b64 exec, exec, s[6:7]
	s_waitcnt lgkmcnt(0)
	s_barrier
	ds_read_u16 v51, v5
	ds_read_u16 v52, v6
	;; [unrolled: 1-line block ×7, first 2 shown]
	ds_read_u16 v65, v0 offset:1680
	ds_read_u16 v64, v0 offset:1904
	;; [unrolled: 1-line block ×7, first 2 shown]
	s_and_saveexec_b64 s[6:7], s[0:1]
	s_cbranch_execz .LBB0_31
; %bb.30:
	ds_read_u16 v29, v14 offset:1568
	ds_read_u16 v43, v0 offset:3248
.LBB0_31:
	s_or_b64 exec, exec, s[6:7]
	v_and_b32_e32 v50, 3, v7
	v_lshlrev_b32_e32 v25, 2, v50
	global_load_dword v66, v25, s[12:13] offset:8
	s_movk_i32 s6, 0xf8
	s_movk_i32 s7, 0x1f8
	;; [unrolled: 1-line block ×5, first 2 shown]
	v_and_or_b32 v25, v17, s6, v50
	v_and_or_b32 v27, v18, s7, v50
	;; [unrolled: 1-line block ×7, first 2 shown]
	v_lshl_add_u32 v73, v25, 1, 0
	v_lshl_add_u32 v72, v27, 1, 0
	;; [unrolled: 1-line block ×7, first 2 shown]
	s_waitcnt vmcnt(0) lgkmcnt(0)
	s_barrier
	v_mul_f16_sdwa v25, v65, v66 dst_sel:DWORD dst_unused:UNUSED_PAD src0_sel:DWORD src1_sel:WORD_1
	v_mul_f16_sdwa v41, v43, v66 dst_sel:DWORD dst_unused:UNUSED_PAD src0_sel:DWORD src1_sel:WORD_1
	;; [unrolled: 1-line block ×8, first 2 shown]
	v_fma_f16 v25, v40, v66, v25
	v_fma_f16 v41, v26, v66, v41
	;; [unrolled: 1-line block ×8, first 2 shown]
	v_sub_f16_e32 v74, v57, v25
	v_sub_f16_e32 v25, v42, v41
	;; [unrolled: 1-line block ×8, first 2 shown]
	v_fma_f16 v27, v42, 2.0, -v25
	v_fma_f16 v41, v57, 2.0, -v74
	;; [unrolled: 1-line block ×8, first 2 shown]
	ds_write_b16 v73, v74 offset:8
	ds_write_b16 v73, v41
	ds_write_b16 v72, v44
	ds_write_b16 v72, v75 offset:8
	ds_write_b16 v71, v45
	ds_write_b16 v71, v31 offset:8
	;; [unrolled: 2-line block ×6, first 2 shown]
	s_and_saveexec_b64 s[6:7], s[0:1]
	s_cbranch_execz .LBB0_33
; %bb.32:
	s_movk_i32 s8, 0x6f8
	v_and_or_b32 v31, v24, s8, v50
	v_lshl_add_u32 v31, v31, 1, 0
	ds_write_b16 v31, v27
	ds_write_b16 v31, v25 offset:8
.LBB0_33:
	s_or_b64 exec, exec, s[6:7]
	s_waitcnt lgkmcnt(0)
	s_barrier
	ds_read_u16 v44, v5
	ds_read_u16 v45, v6
	;; [unrolled: 1-line block ×7, first 2 shown]
	ds_read_u16 v42, v0 offset:1680
	ds_read_u16 v41, v0 offset:1904
	;; [unrolled: 1-line block ×7, first 2 shown]
	s_and_saveexec_b64 s[6:7], s[0:1]
	s_cbranch_execz .LBB0_35
; %bb.34:
	ds_read_u16 v27, v14 offset:1568
	ds_read_u16 v25, v0 offset:3248
.LBB0_35:
	s_or_b64 exec, exec, s[6:7]
	v_mul_f16_sdwa v40, v40, v66 dst_sel:DWORD dst_unused:UNUSED_PAD src0_sel:DWORD src1_sel:WORD_1
	v_fma_f16 v40, v65, v66, -v40
	v_mul_f16_sdwa v28, v28, v66 dst_sel:DWORD dst_unused:UNUSED_PAD src0_sel:DWORD src1_sel:WORD_1
	v_mul_f16_sdwa v26, v26, v66 dst_sel:DWORD dst_unused:UNUSED_PAD src0_sel:DWORD src1_sel:WORD_1
	v_mul_f16_sdwa v38, v38, v66 dst_sel:DWORD dst_unused:UNUSED_PAD src0_sel:DWORD src1_sel:WORD_1
	v_mul_f16_sdwa v36, v36, v66 dst_sel:DWORD dst_unused:UNUSED_PAD src0_sel:DWORD src1_sel:WORD_1
	v_mul_f16_sdwa v34, v34, v66 dst_sel:DWORD dst_unused:UNUSED_PAD src0_sel:DWORD src1_sel:WORD_1
	v_mul_f16_sdwa v32, v32, v66 dst_sel:DWORD dst_unused:UNUSED_PAD src0_sel:DWORD src1_sel:WORD_1
	v_mul_f16_sdwa v30, v30, v66 dst_sel:DWORD dst_unused:UNUSED_PAD src0_sel:DWORD src1_sel:WORD_1
	v_fma_f16 v28, v59, v66, -v28
	v_fma_f16 v26, v43, v66, -v26
	v_sub_f16_e32 v40, v58, v40
	v_fma_f16 v38, v64, v66, -v38
	v_fma_f16 v36, v63, v66, -v36
	;; [unrolled: 1-line block ×5, first 2 shown]
	v_fma_f16 v43, v58, 2.0, -v40
	v_sub_f16_e32 v58, v56, v28
	v_sub_f16_e32 v28, v29, v26
	;; [unrolled: 1-line block ×7, first 2 shown]
	v_fma_f16 v26, v29, 2.0, -v28
	v_fma_f16 v51, v51, 2.0, -v38
	;; [unrolled: 1-line block ×7, first 2 shown]
	s_waitcnt lgkmcnt(0)
	s_barrier
	ds_write_b16 v73, v43
	ds_write_b16 v73, v40 offset:8
	ds_write_b16 v72, v51
	ds_write_b16 v72, v38 offset:8
	ds_write_b16 v71, v52
	ds_write_b16 v71, v36 offset:8
	ds_write_b16 v70, v53
	ds_write_b16 v70, v34 offset:8
	ds_write_b16 v69, v54
	ds_write_b16 v69, v32 offset:8
	ds_write_b16 v68, v55
	ds_write_b16 v68, v30 offset:8
	ds_write_b16 v67, v56
	ds_write_b16 v67, v58 offset:8
	s_and_saveexec_b64 s[6:7], s[0:1]
	s_cbranch_execz .LBB0_37
; %bb.36:
	s_movk_i32 s8, 0x6f8
	v_and_or_b32 v29, v24, s8, v50
	v_lshl_add_u32 v29, v29, 1, 0
	ds_write_b16 v29, v26
	ds_write_b16 v29, v28 offset:8
.LBB0_37:
	s_or_b64 exec, exec, s[6:7]
	s_waitcnt lgkmcnt(0)
	s_barrier
	ds_read_u16 v30, v5
	ds_read_u16 v32, v6
	;; [unrolled: 1-line block ×7, first 2 shown]
	ds_read_u16 v56, v0 offset:1680
	ds_read_u16 v55, v0 offset:1904
	;; [unrolled: 1-line block ×7, first 2 shown]
	s_and_saveexec_b64 s[6:7], s[0:1]
	s_cbranch_execz .LBB0_39
; %bb.38:
	ds_read_u16 v26, v14 offset:1568
	ds_read_u16 v28, v0 offset:3248
.LBB0_39:
	s_or_b64 exec, exec, s[6:7]
	v_and_b32_e32 v29, 7, v7
	v_lshlrev_b32_e32 v58, 2, v29
	global_load_dword v58, v58, s[12:13] offset:24
	s_movk_i32 s6, 0xf0
	s_movk_i32 s7, 0x1f0
	;; [unrolled: 1-line block ×4, first 2 shown]
	v_and_or_b32 v17, v17, s6, v29
	v_and_or_b32 v18, v18, s7, v29
	v_and_or_b32 v19, v19, s8, v29
	v_and_or_b32 v20, v20, s8, v29
	v_and_or_b32 v21, v21, s9, v29
	v_and_or_b32 v63, v23, s9, v29
	s_movk_i32 s14, 0x5f0
	v_lshl_add_u32 v62, v17, 1, 0
	v_lshl_add_u32 v61, v18, 1, 0
	;; [unrolled: 1-line block ×6, first 2 shown]
	v_and_or_b32 v22, v22, s14, v29
	v_lshl_add_u32 v22, v22, 1, 0
	s_waitcnt vmcnt(0) lgkmcnt(0)
	s_barrier
	v_mul_f16_sdwa v17, v56, v58 dst_sel:DWORD dst_unused:UNUSED_PAD src0_sel:DWORD src1_sel:WORD_1
	v_mul_f16_sdwa v18, v55, v58 dst_sel:DWORD dst_unused:UNUSED_PAD src0_sel:DWORD src1_sel:WORD_1
	v_mul_f16_sdwa v19, v54, v58 dst_sel:DWORD dst_unused:UNUSED_PAD src0_sel:DWORD src1_sel:WORD_1
	v_mul_f16_sdwa v20, v53, v58 dst_sel:DWORD dst_unused:UNUSED_PAD src0_sel:DWORD src1_sel:WORD_1
	v_mul_f16_sdwa v63, v52, v58 dst_sel:DWORD dst_unused:UNUSED_PAD src0_sel:DWORD src1_sel:WORD_1
	v_mul_f16_sdwa v64, v51, v58 dst_sel:DWORD dst_unused:UNUSED_PAD src0_sel:DWORD src1_sel:WORD_1
	v_mul_f16_sdwa v65, v50, v58 dst_sel:DWORD dst_unused:UNUSED_PAD src0_sel:DWORD src1_sel:WORD_1
	v_mul_f16_sdwa v66, v28, v58 dst_sel:DWORD dst_unused:UNUSED_PAD src0_sel:DWORD src1_sel:WORD_1
	v_fma_f16 v17, v42, v58, v17
	v_fma_f16 v18, v41, v58, v18
	;; [unrolled: 1-line block ×8, first 2 shown]
	v_sub_f16_e32 v67, v57, v17
	v_sub_f16_e32 v18, v44, v18
	;; [unrolled: 1-line block ×8, first 2 shown]
	v_fma_f16 v57, v57, 2.0, -v67
	v_fma_f16 v44, v44, 2.0, -v18
	v_fma_f16 v45, v45, 2.0, -v19
	v_fma_f16 v46, v46, 2.0, -v20
	v_fma_f16 v47, v47, 2.0, -v63
	v_fma_f16 v48, v48, 2.0, -v64
	v_fma_f16 v49, v49, 2.0, -v65
	ds_write_b16 v62, v67 offset:16
	ds_write_b16 v62, v57
	ds_write_b16 v61, v44
	ds_write_b16 v61, v18 offset:16
	ds_write_b16 v60, v45
	ds_write_b16 v60, v19 offset:16
	;; [unrolled: 2-line block ×6, first 2 shown]
	s_and_saveexec_b64 s[6:7], s[0:1]
	s_cbranch_execz .LBB0_41
; %bb.40:
	s_movk_i32 s8, 0x6f0
	v_and_or_b32 v19, v24, s8, v29
	v_fma_f16 v18, v27, 2.0, -v17
	v_lshl_add_u32 v19, v19, 1, 0
	ds_write_b16 v19, v18
	ds_write_b16 v19, v17 offset:16
.LBB0_41:
	s_or_b64 exec, exec, s[6:7]
	v_mul_f16_sdwa v18, v42, v58 dst_sel:DWORD dst_unused:UNUSED_PAD src0_sel:DWORD src1_sel:WORD_1
	v_fma_f16 v18, v56, v58, -v18
	v_mul_f16_sdwa v19, v41, v58 dst_sel:DWORD dst_unused:UNUSED_PAD src0_sel:DWORD src1_sel:WORD_1
	v_mul_f16_sdwa v20, v39, v58 dst_sel:DWORD dst_unused:UNUSED_PAD src0_sel:DWORD src1_sel:WORD_1
	;; [unrolled: 1-line block ×5, first 2 shown]
	v_fma_f16 v19, v55, v58, -v19
	v_fma_f16 v20, v54, v58, -v20
	;; [unrolled: 1-line block ×5, first 2 shown]
	v_mul_f16_sdwa v31, v31, v58 dst_sel:DWORD dst_unused:UNUSED_PAD src0_sel:DWORD src1_sel:WORD_1
	v_mul_f16_sdwa v25, v25, v58 dst_sel:DWORD dst_unused:UNUSED_PAD src0_sel:DWORD src1_sel:WORD_1
	v_sub_f16_e32 v41, v43, v18
	v_fma_f16 v31, v50, v58, -v31
	v_fma_f16 v25, v28, v58, -v25
	v_fma_f16 v42, v43, 2.0, -v41
	v_sub_f16_e32 v43, v30, v19
	v_sub_f16_e32 v45, v32, v20
	;; [unrolled: 1-line block ×5, first 2 shown]
	v_fma_f16 v44, v30, 2.0, -v43
	v_fma_f16 v46, v32, 2.0, -v45
	;; [unrolled: 1-line block ×5, first 2 shown]
	v_sub_f16_e32 v53, v40, v31
	v_sub_f16_e32 v18, v26, v25
	s_waitcnt lgkmcnt(0)
	s_barrier
	ds_read_u16 v30, v0 offset:2464
	ds_read_u16 v28, v0 offset:2688
	ds_read_u16 v25, v6
	ds_read_u16 v19, v10
	;; [unrolled: 1-line block ×3, first 2 shown]
	ds_read_u16 v37, v0 offset:1344
	ds_read_u16 v36, v0 offset:1568
	;; [unrolled: 1-line block ×4, first 2 shown]
	ds_read_u16 v38, v16
	ds_read_u16 v20, v15
	ds_read_u16 v39, v0 offset:2240
	ds_read_u16 v34, v0 offset:2016
	ds_read_u16 v31, v5
	ds_read_u16 v35, v0 offset:3136
	v_fma_f16 v40, v40, 2.0, -v53
	s_waitcnt lgkmcnt(0)
	s_barrier
	ds_write_b16 v62, v42
	ds_write_b16 v62, v41 offset:16
	ds_write_b16 v61, v44
	ds_write_b16 v61, v43 offset:16
	;; [unrolled: 2-line block ×7, first 2 shown]
	s_and_saveexec_b64 s[6:7], s[0:1]
	s_cbranch_execz .LBB0_43
; %bb.42:
	s_movk_i32 s0, 0x6f0
	v_and_or_b32 v22, v24, s0, v29
	v_fma_f16 v21, v26, 2.0, -v18
	v_lshl_add_u32 v22, v22, 1, 0
	ds_write_b16 v22, v21
	ds_write_b16 v22, v18 offset:16
.LBB0_43:
	s_or_b64 exec, exec, s[6:7]
	v_and_b32_e32 v40, 15, v7
	v_lshlrev_b32_e32 v21, 3, v40
	s_waitcnt lgkmcnt(0)
	s_barrier
	global_load_dwordx2 v[44:45], v21, s[12:13] offset:56
	ds_read_u16 v26, v0 offset:2464
	ds_read_u16 v29, v0 offset:2688
	ds_read_u16 v22, v6
	ds_read_u16 v21, v10
	;; [unrolled: 1-line block ×3, first 2 shown]
	ds_read_u16 v41, v0 offset:1344
	ds_read_u16 v42, v0 offset:1568
	;; [unrolled: 1-line block ×4, first 2 shown]
	ds_read_u16 v46, v16
	ds_read_u16 v16, v15
	ds_read_u16 v15, v0 offset:2240
	ds_read_u16 v48, v0 offset:2016
	ds_read_u16 v24, v5
	ds_read_u16 v58, v0 offset:3136
	s_mov_b32 s8, 0xbaee
	s_movk_i32 s9, 0x3aee
	v_lshrrev_b32_e32 v12, 4, v12
	v_mul_lo_u32 v12, v12, 48
	s_waitcnt vmcnt(0) lgkmcnt(0)
	s_barrier
	v_or_b32_e32 v12, v12, v40
	v_cmp_gt_u32_e64 s[0:1], 16, v7
	v_mul_f16_sdwa v49, v46, v44 dst_sel:DWORD dst_unused:UNUSED_PAD src0_sel:DWORD src1_sel:WORD_1
	v_mul_f16_sdwa v51, v15, v45 dst_sel:DWORD dst_unused:UNUSED_PAD src0_sel:DWORD src1_sel:WORD_1
	;; [unrolled: 1-line block ×9, first 2 shown]
	v_fma_f16 v53, v38, v44, v49
	v_fma_f16 v55, v39, v45, v51
	v_mul_f16_sdwa v56, v37, v44 dst_sel:DWORD dst_unused:UNUSED_PAD src0_sel:DWORD src1_sel:WORD_1
	v_mul_f16_sdwa v61, v30, v45 dst_sel:DWORD dst_unused:UNUSED_PAD src0_sel:DWORD src1_sel:WORD_1
	;; [unrolled: 1-line block ×9, first 2 shown]
	v_fma_f16 v57, v46, v44, -v50
	v_fma_f16 v60, v15, v45, -v52
	v_fma_f16 v49, v37, v44, v54
	v_fma_f16 v51, v30, v45, v59
	v_fma_f16 v52, v29, v45, -v65
	v_fma_f16 v29, v33, v44, v66
	v_fma_f16 v32, v32, v45, v68
	v_add_f16_e32 v15, v27, v53
	v_add_f16_e32 v33, v53, v55
	v_mul_f16_sdwa v63, v36, v44 dst_sel:DWORD dst_unused:UNUSED_PAD src0_sel:DWORD src1_sel:WORD_1
	v_mul_f16_sdwa v72, v58, v45 dst_sel:DWORD dst_unused:UNUSED_PAD src0_sel:DWORD src1_sel:WORD_1
	v_fma_f16 v54, v41, v44, -v56
	v_fma_f16 v56, v26, v45, -v61
	v_fma_f16 v41, v36, v44, v62
	v_fma_f16 v46, v28, v45, v64
	v_fma_f16 v43, v43, v44, -v67
	v_fma_f16 v47, v47, v45, -v69
	v_fma_f16 v26, v34, v44, v70
	v_fma_f16 v30, v48, v44, -v71
	v_fma_f16 v37, v58, v45, -v73
	v_sub_f16_e32 v34, v57, v60
	v_add_f16_e32 v36, v49, v51
	v_add_f16_e32 v48, v29, v32
	;; [unrolled: 1-line block ×3, first 2 shown]
	v_fma_f16 v15, v33, -0.5, v27
	v_fma_f16 v50, v42, v44, -v63
	v_fma_f16 v28, v35, v45, v72
	v_add_f16_e32 v35, v31, v49
	v_add_f16_e32 v42, v41, v46
	;; [unrolled: 1-line block ×3, first 2 shown]
	v_fma_f16 v31, v36, -0.5, v31
	v_fma_f16 v36, v34, s8, v15
	v_fma_f16 v34, v34, s9, v15
	v_fma_f16 v15, v48, -0.5, v19
	v_sub_f16_e32 v19, v43, v47
	v_sub_f16_e32 v38, v54, v56
	v_add_f16_e32 v39, v25, v41
	v_sub_f16_e32 v44, v50, v52
	v_fma_f16 v25, v42, -0.5, v25
	v_fma_f16 v42, v19, s8, v15
	v_fma_f16 v19, v19, s9, v15
	v_add_f16_e32 v15, v20, v26
	v_add_f16_e32 v33, v39, v46
	v_fma_f16 v39, v38, s8, v31
	v_fma_f16 v31, v38, s9, v31
	;; [unrolled: 1-line block ×4, first 2 shown]
	v_add_f16_e32 v44, v15, v28
	v_add_f16_e32 v15, v26, v28
	v_fma_f16 v15, v15, -0.5, v20
	v_sub_f16_e32 v20, v30, v37
	v_add_f16_e32 v27, v35, v51
	v_add_f16_e32 v35, v45, v32
	v_fma_f16 v45, v20, s8, v15
	v_fma_f16 v15, v20, s9, v15
	v_lshrrev_b32_e32 v20, 4, v7
	v_mul_u32_u24_e32 v20, 48, v20
	v_or_b32_e32 v20, v20, v40
	v_lshl_add_u32 v62, v20, 1, 0
	v_lshrrev_b32_e32 v20, 4, v8
	v_mul_lo_u32 v20, v20, 48
	v_lshl_add_u32 v65, v12, 1, 0
	v_lshrrev_b32_e32 v12, 4, v13
	v_mul_lo_u32 v12, v12, 48
	v_or_b32_e32 v20, v20, v40
	v_lshl_add_u32 v63, v20, 1, 0
	v_lshrrev_b32_e32 v20, 4, v9
	v_mul_lo_u32 v20, v20, 48
	v_or_b32_e32 v12, v12, v40
	v_lshl_add_u32 v13, v12, 1, 0
	ds_write_b16 v62, v58
	ds_write_b16 v62, v36 offset:32
	ds_write_b16 v62, v34 offset:64
	v_or_b32_e32 v20, v20, v40
	v_lshl_add_u32 v64, v20, 1, 0
	ds_write_b16 v63, v27
	ds_write_b16 v63, v39 offset:32
	ds_write_b16 v63, v31 offset:64
	ds_write_b16 v64, v33
	ds_write_b16 v64, v38 offset:32
	ds_write_b16 v64, v25 offset:64
	;; [unrolled: 3-line block ×4, first 2 shown]
	s_waitcnt lgkmcnt(0)
	s_barrier
	ds_read_u16 v20, v0
	ds_read_u16 v25, v0 offset:480
	ds_read_u16 v27, v0 offset:1920
	;; [unrolled: 1-line block ×7, first 2 shown]
	ds_read_u16 v19, v5
	ds_read_u16 v34, v0 offset:3104
	ds_read_u16 v44, v0 offset:2880
	;; [unrolled: 1-line block ×5, first 2 shown]
                                        ; implicit-def: $vgpr36
                                        ; implicit-def: $vgpr45
                                        ; implicit-def: $vgpr31
                                        ; implicit-def: $vgpr33
                                        ; implicit-def: $vgpr40
	s_and_saveexec_b64 s[6:7], s[0:1]
	s_cbranch_execz .LBB0_45
; %bb.44:
	ds_read_u16 v15, v6
	ds_read_u16 v17, v14 offset:928
	ds_read_u16 v36, v14 offset:1408
	;; [unrolled: 1-line block ×6, first 2 shown]
.LBB0_45:
	s_or_b64 exec, exec, s[6:7]
	v_add_f16_e32 v12, v23, v57
	v_add_f16_e32 v66, v12, v60
	v_add_f16_e32 v12, v57, v60
	v_fma_f16 v12, v12, -0.5, v23
	v_sub_f16_e32 v23, v53, v55
	v_fma_f16 v53, v23, s9, v12
	v_fma_f16 v23, v23, s8, v12
	v_add_f16_e32 v12, v24, v54
	v_add_f16_e32 v55, v12, v56
	v_add_f16_e32 v12, v54, v56
	v_fma_f16 v12, v12, -0.5, v24
	v_sub_f16_e32 v24, v49, v51
	v_fma_f16 v49, v24, s9, v12
	v_fma_f16 v24, v24, s8, v12
	;; [unrolled: 7-line block ×5, first 2 shown]
	s_waitcnt lgkmcnt(0)
	s_barrier
	ds_write_b16 v62, v66
	ds_write_b16 v62, v53 offset:32
	ds_write_b16 v62, v23 offset:64
	ds_write_b16 v63, v55
	ds_write_b16 v63, v49 offset:32
	ds_write_b16 v63, v24 offset:64
	;; [unrolled: 3-line block ×5, first 2 shown]
	s_waitcnt lgkmcnt(0)
	s_barrier
	ds_read_u16 v16, v0
	ds_read_u16 v21, v0 offset:480
	ds_read_u16 v28, v0 offset:1920
	;; [unrolled: 1-line block ×7, first 2 shown]
	ds_read_u16 v13, v5
	ds_read_u16 v52, v0 offset:3104
	ds_read_u16 v32, v0 offset:2880
	;; [unrolled: 1-line block ×5, first 2 shown]
                                        ; implicit-def: $vgpr56
                                        ; implicit-def: $vgpr55
                                        ; implicit-def: $vgpr53
                                        ; implicit-def: $vgpr54
                                        ; implicit-def: $vgpr57
	s_and_saveexec_b64 s[6:7], s[0:1]
	s_cbranch_execz .LBB0_47
; %bb.46:
	ds_read_u16 v12, v6
	ds_read_u16 v18, v14 offset:928
	ds_read_u16 v56, v14 offset:1408
	;; [unrolled: 1-line block ×6, first 2 shown]
.LBB0_47:
	s_or_b64 exec, exec, s[6:7]
	s_movk_i32 s6, 0xab
	v_mul_lo_u16_sdwa v14, v7, s6 dst_sel:DWORD dst_unused:UNUSED_PAD src0_sel:BYTE_0 src1_sel:DWORD
	v_lshrrev_b16_e32 v66, 13, v14
	v_mul_lo_u16_e32 v14, 48, v66
	v_sub_u16_e32 v67, v7, v14
	v_mov_b32_e32 v37, 6
	v_mul_u32_u24_sdwa v14, v67, v37 dst_sel:DWORD dst_unused:UNUSED_PAD src0_sel:BYTE_0 src1_sel:DWORD
	v_lshlrev_b32_e32 v30, 2, v14
	global_load_dwordx4 v[62:65], v30, s[12:13] offset:184
	s_movk_i32 s9, 0x2b26
	s_mov_b32 s8, 0xbb00
	s_mov_b32 s14, 0xbcab
	s_movk_i32 s15, 0x39e0
	s_mov_b32 s16, 0xb9e0
	s_mov_b32 s17, 0xb574
	s_movk_i32 s19, 0x3574
	s_mov_b32 s18, 0xb70e
	s_waitcnt vmcnt(0)
	v_mul_f16_sdwa v22, v25, v62 dst_sel:DWORD dst_unused:UNUSED_PAD src0_sel:DWORD src1_sel:WORD_1
	s_waitcnt lgkmcnt(12)
	v_mul_f16_sdwa v14, v21, v62 dst_sel:DWORD dst_unused:UNUSED_PAD src0_sel:DWORD src1_sel:WORD_1
	v_fma_f16 v22, v21, v62, -v22
	s_waitcnt lgkmcnt(7)
	v_mul_f16_sdwa v21, v23, v63 dst_sel:DWORD dst_unused:UNUSED_PAD src0_sel:DWORD src1_sel:WORD_1
	v_fma_f16 v21, v61, v63, v21
	v_mul_f16_sdwa v24, v61, v63 dst_sel:DWORD dst_unused:UNUSED_PAD src0_sel:DWORD src1_sel:WORD_1
	global_load_dwordx2 v[60:61], v30, s[12:13] offset:200
	v_fma_f16 v14, v25, v62, v14
	v_mul_f16_sdwa v25, v58, v64 dst_sel:DWORD dst_unused:UNUSED_PAD src0_sel:DWORD src1_sel:WORD_1
	v_fma_f16 v24, v23, v63, -v24
	v_mul_f16_sdwa v23, v26, v64 dst_sel:DWORD dst_unused:UNUSED_PAD src0_sel:DWORD src1_sel:WORD_1
	v_fma_f16 v25, v26, v64, -v25
	v_mul_f16_sdwa v26, v28, v65 dst_sel:DWORD dst_unused:UNUSED_PAD src0_sel:DWORD src1_sel:WORD_1
	v_fma_f16 v26, v27, v65, v26
	v_mul_f16_sdwa v27, v27, v65 dst_sel:DWORD dst_unused:UNUSED_PAD src0_sel:DWORD src1_sel:WORD_1
	v_fma_f16 v27, v28, v65, -v27
	v_fma_f16 v23, v58, v64, v23
	s_waitcnt vmcnt(0)
	v_mul_f16_sdwa v30, v59, v60 dst_sel:DWORD dst_unused:UNUSED_PAD src0_sel:DWORD src1_sel:WORD_1
	s_waitcnt lgkmcnt(1)
	v_mul_f16_sdwa v28, v29, v60 dst_sel:DWORD dst_unused:UNUSED_PAD src0_sel:DWORD src1_sel:WORD_1
	v_fma_f16 v29, v29, v60, -v30
	v_mul_f16_sdwa v30, v32, v61 dst_sel:DWORD dst_unused:UNUSED_PAD src0_sel:DWORD src1_sel:WORD_1
	v_fma_f16 v30, v44, v61, v30
	v_mul_f16_sdwa v44, v44, v61 dst_sel:DWORD dst_unused:UNUSED_PAD src0_sel:DWORD src1_sel:WORD_1
	v_fma_f16 v32, v32, v61, -v44
	v_mul_lo_u16_sdwa v44, v8, s6 dst_sel:DWORD dst_unused:UNUSED_PAD src0_sel:BYTE_0 src1_sel:DWORD
	v_lshrrev_b16_e32 v62, 13, v44
	v_mul_lo_u16_e32 v44, 48, v62
	v_sub_u16_e32 v63, v8, v44
	v_mul_u32_u24_sdwa v37, v63, v37 dst_sel:DWORD dst_unused:UNUSED_PAD src0_sel:BYTE_0 src1_sel:DWORD
	v_lshlrev_b32_e32 v51, 2, v37
	v_fma_f16 v28, v59, v60, v28
	global_load_dwordx4 v[58:61], v51, s[12:13] offset:184
	s_mov_b32 s6, 0xaaab
	s_waitcnt vmcnt(0)
	v_mul_f16_sdwa v37, v41, v58 dst_sel:DWORD dst_unused:UNUSED_PAD src0_sel:DWORD src1_sel:WORD_1
	v_fma_f16 v37, v39, v58, v37
	v_mul_f16_sdwa v39, v39, v58 dst_sel:DWORD dst_unused:UNUSED_PAD src0_sel:DWORD src1_sel:WORD_1
	v_fma_f16 v41, v41, v58, -v39
	v_mul_f16_sdwa v39, v43, v59 dst_sel:DWORD dst_unused:UNUSED_PAD src0_sel:DWORD src1_sel:WORD_1
	v_fma_f16 v39, v42, v59, v39
	v_mul_f16_sdwa v42, v42, v59 dst_sel:DWORD dst_unused:UNUSED_PAD src0_sel:DWORD src1_sel:WORD_1
	v_fma_f16 v44, v43, v59, -v42
	global_load_dwordx2 v[58:59], v51, s[12:13] offset:200
	v_mul_f16_sdwa v42, v46, v60 dst_sel:DWORD dst_unused:UNUSED_PAD src0_sel:DWORD src1_sel:WORD_1
	v_fma_f16 v43, v35, v60, v42
	v_mul_f16_sdwa v35, v35, v60 dst_sel:DWORD dst_unused:UNUSED_PAD src0_sel:DWORD src1_sel:WORD_1
	v_fma_f16 v46, v46, v60, -v35
	s_waitcnt lgkmcnt(0)
	v_mul_f16_sdwa v35, v49, v61 dst_sel:DWORD dst_unused:UNUSED_PAD src0_sel:DWORD src1_sel:WORD_1
	v_fma_f16 v47, v48, v61, v35
	v_mul_f16_sdwa v35, v48, v61 dst_sel:DWORD dst_unused:UNUSED_PAD src0_sel:DWORD src1_sel:WORD_1
	v_fma_f16 v48, v49, v61, -v35
	v_add_f16_e32 v69, v43, v47
	v_sub_f16_e32 v70, v48, v46
	s_waitcnt vmcnt(0)
	v_mul_f16_sdwa v35, v50, v58 dst_sel:DWORD dst_unused:UNUSED_PAD src0_sel:DWORD src1_sel:WORD_1
	v_fma_f16 v49, v38, v58, v35
	v_mul_f16_sdwa v35, v38, v58 dst_sel:DWORD dst_unused:UNUSED_PAD src0_sel:DWORD src1_sel:WORD_1
	v_fma_f16 v50, v50, v58, -v35
	v_mul_f16_sdwa v35, v52, v59 dst_sel:DWORD dst_unused:UNUSED_PAD src0_sel:DWORD src1_sel:WORD_1
	v_fma_f16 v51, v34, v59, v35
	v_mul_f16_sdwa v34, v34, v59 dst_sel:DWORD dst_unused:UNUSED_PAD src0_sel:DWORD src1_sel:WORD_1
	v_fma_f16 v52, v52, v59, -v34
	v_mul_u32_u24_sdwa v34, v9, s6 dst_sel:DWORD dst_unused:UNUSED_PAD src0_sel:WORD_0 src1_sel:DWORD
	v_lshrrev_b32_e32 v34, 21, v34
	v_mul_lo_u16_e32 v34, 48, v34
	v_sub_u16_e32 v64, v9, v34
	v_mul_u32_u24_e32 v34, 6, v64
	v_lshlrev_b32_e32 v65, 2, v34
	global_load_dwordx4 v[58:61], v65, s[12:13] offset:184
	s_waitcnt vmcnt(0)
	v_mul_f16_sdwa v34, v18, v58 dst_sel:DWORD dst_unused:UNUSED_PAD src0_sel:DWORD src1_sel:WORD_1
	v_fma_f16 v34, v17, v58, v34
	v_mul_f16_sdwa v17, v17, v58 dst_sel:DWORD dst_unused:UNUSED_PAD src0_sel:DWORD src1_sel:WORD_1
	v_fma_f16 v35, v18, v58, -v17
	v_mul_f16_sdwa v17, v56, v59 dst_sel:DWORD dst_unused:UNUSED_PAD src0_sel:DWORD src1_sel:WORD_1
	v_fma_f16 v18, v36, v59, v17
	v_mul_f16_sdwa v17, v36, v59 dst_sel:DWORD dst_unused:UNUSED_PAD src0_sel:DWORD src1_sel:WORD_1
	v_fma_f16 v38, v56, v59, -v17
	v_mul_f16_sdwa v17, v57, v60 dst_sel:DWORD dst_unused:UNUSED_PAD src0_sel:DWORD src1_sel:WORD_1
	v_fma_f16 v36, v40, v60, v17
	v_mul_f16_sdwa v17, v40, v60 dst_sel:DWORD dst_unused:UNUSED_PAD src0_sel:DWORD src1_sel:WORD_1
	v_fma_f16 v40, v57, v60, -v17
	global_load_dwordx2 v[56:57], v65, s[12:13] offset:200
	v_mul_f16_sdwa v17, v55, v61 dst_sel:DWORD dst_unused:UNUSED_PAD src0_sel:DWORD src1_sel:WORD_1
	v_fma_f16 v42, v45, v61, v17
	v_mul_f16_sdwa v17, v45, v61 dst_sel:DWORD dst_unused:UNUSED_PAD src0_sel:DWORD src1_sel:WORD_1
	v_fma_f16 v45, v55, v61, -v17
	v_add_f16_e32 v58, v23, v26
	v_sub_f16_e32 v59, v27, v25
	s_waitcnt vmcnt(0)
	s_barrier
	v_mul_f16_sdwa v17, v54, v56 dst_sel:DWORD dst_unused:UNUSED_PAD src0_sel:DWORD src1_sel:WORD_1
	v_fma_f16 v55, v33, v56, v17
	v_mul_f16_sdwa v17, v33, v56 dst_sel:DWORD dst_unused:UNUSED_PAD src0_sel:DWORD src1_sel:WORD_1
	v_fma_f16 v33, v54, v56, -v17
	v_mul_f16_sdwa v17, v53, v57 dst_sel:DWORD dst_unused:UNUSED_PAD src0_sel:DWORD src1_sel:WORD_1
	v_fma_f16 v54, v31, v57, v17
	v_mul_f16_sdwa v17, v31, v57 dst_sel:DWORD dst_unused:UNUSED_PAD src0_sel:DWORD src1_sel:WORD_1
	v_fma_f16 v31, v53, v57, -v17
	v_add_f16_e32 v17, v14, v30
	v_add_f16_e32 v56, v21, v28
	v_sub_f16_e32 v53, v22, v32
	v_sub_f16_e32 v57, v24, v29
	v_add_f16_e32 v60, v56, v17
	v_sub_f16_e32 v61, v56, v17
	v_sub_f16_e32 v17, v17, v58
	v_sub_f16_e32 v56, v58, v56
	v_add_f16_e32 v65, v59, v57
	v_sub_f16_e32 v68, v59, v57
	v_sub_f16_e32 v57, v57, v53
	v_add_f16_e32 v58, v58, v60
	v_sub_f16_e32 v59, v53, v59
	v_add_f16_e32 v53, v65, v53
	v_add_f16_e32 v20, v20, v58
	v_mul_f16_e32 v17, 0x3a52, v17
	v_mul_f16_e32 v60, 0x2b26, v56
	v_mul_f16_e32 v65, 0x3846, v68
	v_mul_f16_e32 v68, 0xbb00, v57
	v_fma_f16 v58, v58, s14, v20
	v_fma_f16 v56, v56, s9, v17
	v_fma_f16 v60, v61, s15, -v60
	v_fma_f16 v17, v61, s16, -v17
	v_fma_f16 v61, v59, s17, v65
	v_fma_f16 v57, v57, s8, -v65
	v_fma_f16 v59, v59, s19, -v68
	v_add_f16_e32 v56, v56, v58
	v_add_f16_e32 v60, v60, v58
	;; [unrolled: 1-line block ×3, first 2 shown]
	v_fma_f16 v58, v53, s18, v61
	v_fma_f16 v57, v53, s18, v57
	;; [unrolled: 1-line block ×3, first 2 shown]
	v_add_f16_e32 v59, v58, v56
	v_add_f16_e32 v61, v53, v17
	v_sub_f16_e32 v65, v60, v57
	v_add_f16_e32 v57, v57, v60
	v_sub_f16_e32 v17, v17, v53
	v_sub_f16_e32 v53, v56, v58
	v_add_f16_e32 v56, v37, v51
	v_add_f16_e32 v60, v39, v49
	v_sub_f16_e32 v58, v41, v52
	v_sub_f16_e32 v68, v44, v50
	v_add_f16_e32 v71, v60, v56
	v_sub_f16_e32 v72, v60, v56
	v_sub_f16_e32 v56, v56, v69
	v_sub_f16_e32 v60, v69, v60
	v_add_f16_e32 v73, v70, v68
	v_sub_f16_e32 v74, v70, v68
	v_sub_f16_e32 v68, v68, v58
	v_add_f16_e32 v69, v69, v71
	v_sub_f16_e32 v70, v58, v70
	v_add_f16_e32 v58, v73, v58
	v_add_f16_e32 v19, v19, v69
	v_mul_f16_e32 v56, 0x3a52, v56
	v_mul_f16_e32 v71, 0x2b26, v60
	;; [unrolled: 1-line block ×4, first 2 shown]
	v_fma_f16 v69, v69, s14, v19
	v_fma_f16 v60, v60, s9, v56
	v_fma_f16 v71, v72, s15, -v71
	v_fma_f16 v56, v72, s16, -v56
	v_fma_f16 v72, v70, s17, v73
	v_fma_f16 v68, v68, s8, -v73
	v_fma_f16 v70, v70, s19, -v74
	v_add_f16_e32 v60, v60, v69
	v_add_f16_e32 v71, v71, v69
	;; [unrolled: 1-line block ×3, first 2 shown]
	v_fma_f16 v69, v58, s18, v72
	v_fma_f16 v68, v58, s18, v68
	;; [unrolled: 1-line block ×3, first 2 shown]
	v_add_f16_e32 v72, v58, v56
	v_sub_f16_e32 v58, v56, v58
	v_mul_u32_u24_e32 v56, 0x2a0, v66
	v_mov_b32_e32 v66, 1
	v_lshlrev_b32_sdwa v67, v66, v67 dst_sel:DWORD dst_unused:UNUSED_PAD src0_sel:DWORD src1_sel:BYTE_0
	v_add3_u32 v56, 0, v56, v67
	ds_write_b16 v56, v20
	ds_write_b16 v56, v59 offset:96
	ds_write_b16 v56, v61 offset:192
	;; [unrolled: 1-line block ×6, first 2 shown]
	v_mul_u32_u24_e32 v17, 0x2a0, v62
	v_lshlrev_b32_sdwa v20, v66, v63 dst_sel:DWORD dst_unused:UNUSED_PAD src0_sel:DWORD src1_sel:BYTE_0
	v_add3_u32 v57, 0, v17, v20
	v_lshl_add_u32 v53, v64, 1, 0
	v_add_f16_e32 v70, v69, v60
	v_sub_f16_e32 v73, v71, v68
	v_add_f16_e32 v68, v68, v71
	v_sub_f16_e32 v60, v60, v69
	ds_write_b16 v57, v19
	ds_write_b16 v57, v70 offset:96
	ds_write_b16 v57, v72 offset:192
	;; [unrolled: 1-line block ×6, first 2 shown]
	s_and_saveexec_b64 s[6:7], s[0:1]
	s_cbranch_execz .LBB0_49
; %bb.48:
	v_add_f16_e32 v17, v34, v54
	v_add_f16_e32 v58, v18, v55
	;; [unrolled: 1-line block ×4, first 2 shown]
	v_sub_f16_e32 v20, v17, v19
	v_sub_f16_e32 v59, v19, v58
	v_add_f16_e32 v19, v19, v61
	v_sub_f16_e32 v61, v35, v31
	v_sub_f16_e32 v62, v45, v40
	;; [unrolled: 1-line block ×5, first 2 shown]
	v_add_f16_e32 v62, v62, v64
	v_sub_f16_e32 v17, v58, v17
	v_sub_f16_e32 v58, v64, v61
	v_mul_f16_e32 v20, 0x3a52, v20
	v_mul_f16_e32 v60, 0x2b26, v59
	v_add_f16_e32 v15, v15, v19
	v_mul_f16_e32 v65, 0x3846, v65
	v_add_f16_e32 v62, v62, v61
	v_mul_f16_e32 v61, 0xbb00, v58
	v_fma_f16 v59, v59, s9, v20
	v_fma_f16 v19, v19, s14, v15
	;; [unrolled: 1-line block ×3, first 2 shown]
	v_fma_f16 v20, v17, s16, -v20
	v_fma_f16 v61, v63, s19, -v61
	v_fma_f16 v58, v58, s8, -v65
	v_fma_f16 v17, v17, s15, -v60
	v_add_f16_e32 v59, v59, v19
	v_fma_f16 v66, v62, s18, v66
	v_add_f16_e32 v20, v20, v19
	v_fma_f16 v61, v62, s18, v61
	v_fma_f16 v58, v62, s18, v58
	v_add_f16_e32 v17, v17, v19
	v_sub_f16_e32 v67, v59, v66
	v_sub_f16_e32 v63, v20, v61
	v_add_f16_e32 v19, v58, v17
	v_sub_f16_e32 v17, v17, v58
	v_add_f16_e32 v20, v61, v20
	v_add_f16_e32 v58, v66, v59
	ds_write_b16 v53, v15 offset:2688
	ds_write_b16 v53, v58 offset:2784
	ds_write_b16 v53, v20 offset:2880
	ds_write_b16 v53, v17 offset:2976
	ds_write_b16 v53, v19 offset:3072
	ds_write_b16 v53, v63 offset:3168
	ds_write_b16 v53, v67 offset:3264
.LBB0_49:
	s_or_b64 exec, exec, s[6:7]
	v_add_f16_e32 v15, v22, v32
	v_add_f16_e32 v17, v24, v29
	v_sub_f16_e32 v14, v14, v30
	v_sub_f16_e32 v19, v21, v28
	v_add_f16_e32 v20, v25, v27
	v_sub_f16_e32 v21, v26, v23
	v_add_f16_e32 v22, v17, v15
	v_sub_f16_e32 v23, v17, v15
	v_sub_f16_e32 v15, v15, v20
	;; [unrolled: 1-line block ×3, first 2 shown]
	v_add_f16_e32 v24, v21, v19
	v_sub_f16_e32 v25, v21, v19
	v_sub_f16_e32 v19, v19, v14
	v_add_f16_e32 v20, v20, v22
	v_sub_f16_e32 v21, v14, v21
	v_add_f16_e32 v14, v24, v14
	v_add_f16_e32 v29, v16, v20
	v_mul_f16_e32 v15, 0x3a52, v15
	v_mul_f16_e32 v16, 0x2b26, v17
	;; [unrolled: 1-line block ×4, first 2 shown]
	v_fma_f16 v20, v20, s14, v29
	v_fma_f16 v17, v17, s9, v15
	v_fma_f16 v16, v23, s15, -v16
	v_fma_f16 v15, v23, s16, -v15
	v_fma_f16 v23, v21, s17, v22
	v_fma_f16 v19, v19, s8, -v22
	v_fma_f16 v21, v21, s19, -v24
	v_add_f16_e32 v17, v17, v20
	v_add_f16_e32 v16, v16, v20
	;; [unrolled: 1-line block ×3, first 2 shown]
	v_fma_f16 v20, v14, s18, v23
	v_fma_f16 v19, v14, s18, v19
	;; [unrolled: 1-line block ×3, first 2 shown]
	v_sub_f16_e32 v32, v15, v14
	v_add_f16_e32 v58, v19, v16
	v_sub_f16_e32 v59, v16, v19
	v_add_f16_e32 v60, v14, v15
	v_add_f16_e32 v14, v41, v52
	;; [unrolled: 1-line block ×3, first 2 shown]
	v_sub_f16_e32 v30, v17, v20
	v_add_f16_e32 v61, v20, v17
	v_sub_f16_e32 v15, v37, v51
	v_sub_f16_e32 v17, v39, v49
	v_add_f16_e32 v19, v46, v48
	v_sub_f16_e32 v20, v47, v43
	v_add_f16_e32 v21, v16, v14
	v_sub_f16_e32 v22, v16, v14
	v_sub_f16_e32 v14, v14, v19
	;; [unrolled: 1-line block ×3, first 2 shown]
	v_add_f16_e32 v23, v20, v17
	v_sub_f16_e32 v24, v20, v17
	v_sub_f16_e32 v17, v17, v15
	v_add_f16_e32 v19, v19, v21
	v_sub_f16_e32 v20, v15, v20
	v_add_f16_e32 v15, v23, v15
	v_add_f16_e32 v37, v13, v19
	v_mul_f16_e32 v13, 0x3a52, v14
	v_mul_f16_e32 v14, 0x2b26, v16
	;; [unrolled: 1-line block ×4, first 2 shown]
	v_fma_f16 v19, v19, s14, v37
	v_fma_f16 v16, v16, s9, v13
	v_fma_f16 v14, v22, s15, -v14
	v_fma_f16 v13, v22, s16, -v13
	v_fma_f16 v22, v20, s17, v21
	v_fma_f16 v17, v17, s8, -v21
	v_fma_f16 v20, v20, s19, -v23
	v_add_f16_e32 v16, v16, v19
	v_add_f16_e32 v14, v14, v19
	;; [unrolled: 1-line block ×3, first 2 shown]
	v_fma_f16 v19, v15, s18, v22
	v_fma_f16 v17, v15, s18, v17
	;; [unrolled: 1-line block ×3, first 2 shown]
	v_sub_f16_e32 v39, v16, v19
	v_sub_f16_e32 v41, v13, v15
	v_add_f16_e32 v43, v17, v14
	v_sub_f16_e32 v44, v14, v17
	v_add_f16_e32 v46, v15, v13
	v_add_f16_e32 v47, v19, v16
	s_waitcnt lgkmcnt(0)
	s_barrier
	ds_read_u16 v14, v11
	ds_read_u16 v13, v0
	ds_read_u16 v21, v0 offset:896
	ds_read_u16 v15, v0 offset:2688
	;; [unrolled: 1-line block ×3, first 2 shown]
	ds_read_u16 v17, v10
	ds_read_u16 v24, v6
	ds_read_u16 v20, v0 offset:2240
	ds_read_u16 v25, v0 offset:2464
	;; [unrolled: 1-line block ×6, first 2 shown]
	ds_read_u16 v19, v5
	ds_read_u16 v28, v0 offset:3136
	s_waitcnt lgkmcnt(0)
	s_barrier
	ds_write_b16 v56, v29
	ds_write_b16 v56, v30 offset:96
	ds_write_b16 v56, v32 offset:192
	;; [unrolled: 1-line block ×6, first 2 shown]
	ds_write_b16 v57, v37
	ds_write_b16 v57, v39 offset:96
	ds_write_b16 v57, v41 offset:192
	;; [unrolled: 1-line block ×6, first 2 shown]
	s_and_saveexec_b64 s[6:7], s[0:1]
	s_cbranch_execz .LBB0_51
; %bb.50:
	v_add_f16_e32 v29, v35, v31
	v_add_f16_e32 v31, v38, v33
	;; [unrolled: 1-line block ×3, first 2 shown]
	v_sub_f16_e32 v30, v34, v54
	v_add_f16_e32 v34, v31, v29
	v_sub_f16_e32 v35, v31, v29
	v_sub_f16_e32 v29, v29, v32
	;; [unrolled: 1-line block ×3, first 2 shown]
	v_mul_f16_e32 v29, 0x3a52, v29
	s_movk_i32 s0, 0x2b26
	v_sub_f16_e32 v18, v18, v55
	v_sub_f16_e32 v33, v42, v36
	v_add_f16_e32 v32, v32, v34
	v_mul_f16_e32 v34, 0x2b26, v31
	v_fma_f16 v31, v31, s0, v29
	s_movk_i32 s0, 0x39e0
	v_add_f16_e32 v36, v33, v18
	v_sub_f16_e32 v37, v33, v18
	v_fma_f16 v34, v35, s0, -v34
	s_mov_b32 s0, 0xb9e0
	v_sub_f16_e32 v33, v30, v33
	v_sub_f16_e32 v18, v18, v30
	v_add_f16_e32 v30, v36, v30
	v_mul_f16_e32 v36, 0x3846, v37
	v_fma_f16 v29, v35, s0, -v29
	s_mov_b32 s0, 0xb574
	v_add_f16_e32 v12, v12, v32
	s_mov_b32 s1, 0xbb00
	v_mul_f16_e32 v37, 0xbb00, v18
	s_mov_b32 s8, 0xbcab
	v_fma_f16 v35, v33, s0, v36
	s_movk_i32 s0, 0x3574
	v_fma_f16 v32, v32, s8, v12
	v_fma_f16 v18, v18, s1, -v36
	v_fma_f16 v33, v33, s0, -v37
	s_mov_b32 s0, 0xb70e
	v_add_f16_e32 v31, v31, v32
	v_add_f16_e32 v34, v34, v32
	;; [unrolled: 1-line block ×3, first 2 shown]
	v_fma_f16 v32, v30, s0, v35
	v_fma_f16 v18, v30, s0, v18
	;; [unrolled: 1-line block ×3, first 2 shown]
	v_sub_f16_e32 v33, v31, v32
	v_sub_f16_e32 v35, v29, v30
	v_add_f16_e32 v36, v18, v34
	v_sub_f16_e32 v18, v34, v18
	v_add_f16_e32 v29, v30, v29
	v_add_f16_e32 v30, v32, v31
	ds_write_b16 v53, v12 offset:2688
	ds_write_b16 v53, v33 offset:2784
	;; [unrolled: 1-line block ×7, first 2 shown]
.LBB0_51:
	s_or_b64 exec, exec, s[6:7]
	s_waitcnt lgkmcnt(0)
	s_barrier
	s_and_saveexec_b64 s[0:1], vcc
	s_cbranch_execz .LBB0_53
; %bb.52:
	v_lshlrev_b32_e32 v33, 2, v9
	v_mov_b32_e32 v34, 0
	v_lshlrev_b64 v[29:30], 2, v[33:34]
	v_mov_b32_e32 v12, s13
	v_add_co_u32_e32 v29, vcc, s12, v29
	v_addc_co_u32_e32 v30, vcc, v12, v30, vcc
	global_load_dwordx4 v[29:32], v[29:30], off offset:1336
	v_mul_lo_u32 v9, s5, v3
	v_mul_lo_u32 v18, s4, v4
	v_mad_u64_u32 v[35:36], s[0:1], s4, v3, 0
	ds_read_u16 v37, v0 offset:2464
	ds_read_u16 v38, v0 offset:2240
	ds_read_u16 v39, v0 offset:2016
	ds_read_u16 v40, v0 offset:1792
	ds_read_u16 v41, v0 offset:1568
	ds_read_u16 v42, v0 offset:1120
	ds_read_u16 v43, v0 offset:896
	ds_read_u16 v44, v10
	ds_read_u16 v45, v11
	;; [unrolled: 1-line block ×4, first 2 shown]
	ds_read_u16 v11, v0 offset:3136
	ds_read_u16 v47, v0 offset:2912
	v_lshlrev_b32_e32 v33, 2, v8
	v_lshlrev_b64 v[3:4], 2, v[33:34]
	v_add3_u32 v36, v36, v18, v9
	v_add_co_u32_e32 v3, vcc, s12, v3
	v_addc_co_u32_e32 v4, vcc, v12, v4, vcc
	s_mov_b32 s1, 0xbb9c
	s_movk_i32 s5, 0x3b9c
	global_load_dwordx4 v[3:6], v[3:4], off offset:1336
	s_mov_b32 s4, 0xb8b4
	s_movk_i32 s6, 0x38b4
	s_movk_i32 s0, 0x34f2
	s_waitcnt vmcnt(1)
	v_mul_f16_sdwa v8, v27, v29 dst_sel:DWORD dst_unused:UNUSED_PAD src0_sel:DWORD src1_sel:WORD_1
	v_mul_f16_sdwa v9, v26, v30 dst_sel:DWORD dst_unused:UNUSED_PAD src0_sel:DWORD src1_sel:WORD_1
	;; [unrolled: 1-line block ×4, first 2 shown]
	s_waitcnt lgkmcnt(7)
	v_mul_f16_sdwa v48, v42, v29 dst_sel:DWORD dst_unused:UNUSED_PAD src0_sel:DWORD src1_sel:WORD_1
	s_waitcnt lgkmcnt(1)
	v_mul_f16_sdwa v49, v11, v32 dst_sel:DWORD dst_unused:UNUSED_PAD src0_sel:DWORD src1_sel:WORD_1
	v_mul_f16_sdwa v50, v40, v30 dst_sel:DWORD dst_unused:UNUSED_PAD src0_sel:DWORD src1_sel:WORD_1
	;; [unrolled: 1-line block ×3, first 2 shown]
	v_fma_f16 v8, v29, v42, -v8
	v_fma_f16 v9, v30, v40, -v9
	;; [unrolled: 1-line block ×4, first 2 shown]
	v_fma_f16 v27, v27, v29, v48
	v_fma_f16 v28, v28, v32, v49
	;; [unrolled: 1-line block ×4, first 2 shown]
	v_sub_f16_e32 v29, v8, v9
	v_sub_f16_e32 v30, v18, v11
	v_add_f16_e32 v31, v9, v11
	v_sub_f16_e32 v32, v27, v28
	v_sub_f16_e32 v37, v27, v26
	;; [unrolled: 1-line block ×3, first 2 shown]
	v_add_f16_e32 v42, v26, v25
	v_add_f16_e32 v52, v8, v18
	;; [unrolled: 1-line block ×3, first 2 shown]
	v_fma_f16 v30, v31, -0.5, v10
	v_sub_f16_e32 v33, v26, v25
	v_add_f16_e32 v31, v37, v40
	v_fma_f16 v37, v42, -0.5, v24
	v_fma_f16 v42, v52, -0.5, v10
	v_fma_f16 v52, v32, s1, v30
	v_fma_f16 v30, v32, s5, v30
	v_sub_f16_e32 v48, v8, v18
	v_sub_f16_e32 v50, v9, v8
	;; [unrolled: 1-line block ×5, first 2 shown]
	v_fma_f16 v52, v33, s4, v52
	v_fma_f16 v30, v33, s6, v30
	v_sub_f16_e32 v49, v9, v11
	v_add_f16_e32 v40, v50, v51
	v_add_f16_e32 v50, v53, v54
	v_fma_f16 v53, v48, s5, v37
	v_fma_f16 v52, v29, s0, v52
	;; [unrolled: 1-line block ×4, first 2 shown]
	v_add_f16_e32 v8, v8, v10
	v_fma_f16 v54, v33, s5, v42
	v_fma_f16 v53, v49, s6, v53
	;; [unrolled: 1-line block ×4, first 2 shown]
	v_add_f16_e32 v8, v9, v8
	v_lshlrev_b32_e32 v33, 2, v7
	v_fma_f16 v53, v31, s0, v53
	v_fma_f16 v30, v31, s0, v30
	v_add_f16_e32 v31, v11, v8
	v_lshlrev_b64 v[8:9], 2, v[33:34]
	v_add_f16_e32 v55, v27, v28
	v_add_co_u32_e32 v8, vcc, s12, v8
	v_addc_co_u32_e32 v9, vcc, v12, v9, vcc
	global_load_dwordx4 v[8:11], v[8:9], off offset:1336
	v_add_f16_e32 v12, v18, v31
	v_add_f16_e32 v18, v24, v27
	;; [unrolled: 1-line block ×4, first 2 shown]
	v_fma_f16 v51, v55, -0.5, v24
	v_add_f16_e32 v18, v28, v18
	s_waitcnt vmcnt(1)
	v_mul_f16_sdwa v24, v21, v3 dst_sel:DWORD dst_unused:UNUSED_PAD src0_sel:DWORD src1_sel:WORD_1
	v_mul_f16_sdwa v26, v23, v4 dst_sel:DWORD dst_unused:UNUSED_PAD src0_sel:DWORD src1_sel:WORD_1
	;; [unrolled: 1-line block ×5, first 2 shown]
	v_fma_f16 v24, v3, v43, -v24
	v_fma_f16 v26, v4, v41, -v26
	s_waitcnt lgkmcnt(0)
	v_fma_f16 v28, v6, v47, -v28
	v_fma_f16 v31, v5, v38, -v31
	v_fma_f16 v3, v21, v3, v33
	v_mul_f16_sdwa v33, v41, v4 dst_sel:DWORD dst_unused:UNUSED_PAD src0_sel:DWORD src1_sel:WORD_1
	v_mul_f16_sdwa v21, v47, v6 dst_sel:DWORD dst_unused:UNUSED_PAD src0_sel:DWORD src1_sel:WORD_1
	v_fma_f16 v4, v23, v4, v33
	v_mul_f16_sdwa v23, v38, v5 dst_sel:DWORD dst_unused:UNUSED_PAD src0_sel:DWORD src1_sel:WORD_1
	v_sub_f16_e32 v41, v26, v24
	v_sub_f16_e32 v43, v31, v28
	v_fma_f16 v54, v32, s4, v54
	v_fma_f16 v42, v32, s6, v42
	v_sub_f16_e32 v27, v24, v26
	v_sub_f16_e32 v32, v28, v31
	v_fma_f16 v6, v22, v6, v21
	v_fma_f16 v5, v20, v5, v23
	v_add_f16_e32 v41, v41, v43
	v_add_f16_e32 v43, v24, v28
	v_fma_f16 v55, v49, s1, v51
	v_fma_f16 v54, v40, s0, v54
	;; [unrolled: 1-line block ×4, first 2 shown]
	v_add_f16_e32 v27, v27, v32
	v_add_f16_e32 v32, v26, v31
	v_sub_f16_e32 v20, v4, v5
	v_sub_f16_e32 v23, v3, v4
	;; [unrolled: 1-line block ×3, first 2 shown]
	v_fma_f16 v43, v43, -0.5, v46
	v_fma_f16 v55, v48, s6, v55
	v_fma_f16 v42, v48, s4, v42
	ds_read_u16 v25, v0
	ds_read_u16 v0, v0 offset:2688
	v_fma_f16 v32, v32, -0.5, v46
	v_sub_f16_e32 v21, v3, v6
	v_add_f16_e32 v23, v23, v33
	v_add_f16_e32 v33, v4, v5
	v_fma_f16 v47, v20, s5, v43
	v_sub_f16_e32 v48, v4, v3
	v_sub_f16_e32 v49, v5, v6
	v_fma_f16 v43, v20, s1, v43
	v_fma_f16 v22, v21, s1, v32
	v_fma_f16 v33, v33, -0.5, v19
	v_sub_f16_e32 v34, v24, v28
	v_fma_f16 v47, v21, s4, v47
	v_add_f16_e32 v48, v48, v49
	v_add_f16_e32 v49, v3, v6
	v_fma_f16 v43, v21, s6, v43
	v_fma_f16 v21, v21, s5, v32
	v_add_f16_e32 v3, v19, v3
	v_fma_f16 v22, v20, s4, v22
	v_fma_f16 v37, v34, s5, v33
	v_sub_f16_e32 v38, v26, v31
	v_fma_f16 v20, v20, s6, v21
	v_fma_f16 v21, v34, s1, v33
	v_add_f16_e32 v3, v3, v4
	v_fma_f16 v37, v38, s6, v37
	v_fma_f16 v21, v38, s4, v21
	v_add_f16_e32 v3, v3, v5
	v_fma_f16 v22, v27, s0, v22
	v_fma_f16 v37, v23, s0, v37
	v_fma_f16 v49, v49, -0.5, v19
	v_fma_f16 v20, v27, s0, v20
	v_fma_f16 v21, v23, s0, v21
	v_add_f16_e32 v23, v24, v46
	v_add_f16_e32 v19, v6, v3
	;; [unrolled: 1-line block ×3, first 2 shown]
	v_fma_f16 v55, v50, s0, v55
	s_waitcnt vmcnt(0)
	v_mul_f16_sdwa v3, v17, v8 dst_sel:DWORD dst_unused:UNUSED_PAD src0_sel:DWORD src1_sel:WORD_1
	v_mul_f16_sdwa v4, v14, v9 dst_sel:DWORD dst_unused:UNUSED_PAD src0_sel:DWORD src1_sel:WORD_1
	;; [unrolled: 1-line block ×5, first 2 shown]
	v_fma_f16 v3, v8, v44, -v3
	v_fma_f16 v4, v9, v45, -v4
	s_waitcnt lgkmcnt(0)
	v_fma_f16 v6, v11, v0, -v6
	v_fma_f16 v24, v10, v39, -v24
	v_fma_f16 v8, v17, v8, v27
	v_mul_f16_sdwa v17, v45, v9 dst_sel:DWORD dst_unused:UNUSED_PAD src0_sel:DWORD src1_sel:WORD_1
	v_fma_f16 v9, v14, v9, v17
	v_mul_f16_sdwa v14, v39, v10 dst_sel:DWORD dst_unused:UNUSED_PAD src0_sel:DWORD src1_sel:WORD_1
	v_sub_f16_e32 v32, v4, v3
	v_sub_f16_e32 v33, v24, v6
	;; [unrolled: 1-line block ×4, first 2 shown]
	v_mul_f16_sdwa v0, v0, v11 dst_sel:DWORD dst_unused:UNUSED_PAD src0_sel:DWORD src1_sel:WORD_1
	v_fma_f16 v10, v16, v10, v14
	v_add_f16_e32 v32, v32, v33
	v_add_f16_e32 v33, v3, v6
	v_fma_f16 v42, v50, s0, v42
	v_fma_f16 v47, v41, s0, v47
	;; [unrolled: 1-line block ×5, first 2 shown]
	v_add_f16_e32 v5, v5, v26
	v_add_f16_e32 v26, v4, v24
	v_fma_f16 v11, v15, v11, v0
	v_sub_f16_e32 v14, v9, v10
	v_fma_f16 v33, v33, -0.5, v25
	v_fma_f16 v50, v34, s6, v50
	v_fma_f16 v43, v34, s4, v43
	v_fma_f16 v26, v26, -0.5, v25
	v_sub_f16_e32 v0, v8, v11
	v_sub_f16_e32 v16, v8, v9
	;; [unrolled: 1-line block ×3, first 2 shown]
	v_fma_f16 v34, v14, s5, v33
	v_sub_f16_e32 v38, v9, v8
	v_sub_f16_e32 v39, v10, v11
	v_fma_f16 v33, v14, s1, v33
	v_fma_f16 v15, v0, s1, v26
	v_add_f16_e32 v16, v16, v17
	v_add_f16_e32 v17, v9, v10
	v_fma_f16 v34, v0, s4, v34
	v_add_f16_e32 v38, v38, v39
	v_add_f16_e32 v39, v8, v11
	v_fma_f16 v33, v0, s6, v33
	v_fma_f16 v0, v0, s5, v26
	v_add_f16_e32 v23, v31, v23
	v_fma_f16 v15, v14, s4, v15
	v_fma_f16 v17, v17, -0.5, v13
	v_sub_f16_e32 v27, v3, v6
	v_sub_f16_e32 v31, v4, v24
	v_fma_f16 v39, v39, -0.5, v13
	v_fma_f16 v0, v14, s6, v0
	v_fma_f16 v15, v5, s0, v15
	;; [unrolled: 1-line block ×5, first 2 shown]
	v_lshrrev_b32_e32 v5, 4, v7
	s_mov_b32 s1, 0x18618619
	v_mul_hi_u32 v5, v5, s1
	v_add_f16_e32 v23, v28, v23
	v_fma_f16 v28, v27, s5, v17
	v_fma_f16 v28, v31, s6, v28
	;; [unrolled: 1-line block ×5, first 2 shown]
	v_add_f16_e32 v0, v3, v25
	v_lshrrev_b32_e32 v3, 1, v5
	v_mul_u32_u24_e32 v3, 0x150, v3
	v_fma_f16 v34, v32, s0, v34
	v_fma_f16 v32, v32, s0, v33
	;; [unrolled: 1-line block ×3, first 2 shown]
	v_sub_u32_e32 v17, v7, v3
	v_fma_f16 v33, v27, s4, v33
	v_add_f16_e32 v0, v4, v0
	v_mad_u64_u32 v[3:4], s[4:5], s2, v17, 0
	v_add_f16_e32 v0, v24, v0
	v_add_f16_e32 v24, v6, v0
	v_mov_b32_e32 v0, v4
	v_add_f16_e32 v6, v13, v8
	v_mad_u64_u32 v[4:5], s[4:5], s3, v17, v[0:1]
	v_add_f16_e32 v0, v6, v9
	v_lshlrev_b64 v[5:6], 2, v[35:36]
	v_add_f16_e32 v0, v0, v10
	v_add_f16_e32 v8, v11, v0
	v_mov_b32_e32 v0, s11
	v_add_co_u32_e32 v9, vcc, s10, v5
	v_add_u32_e32 v11, 0x150, v17
	v_addc_co_u32_e32 v10, vcc, v0, v6, vcc
	v_mad_u64_u32 v[5:6], s[4:5], s2, v11, 0
	v_lshlrev_b64 v[0:1], 2, v[1:2]
	v_fma_f16 v33, v38, s0, v33
	v_add_co_u32_e32 v9, vcc, v9, v0
	v_mov_b32_e32 v2, v6
	v_addc_co_u32_e32 v10, vcc, v10, v1, vcc
	v_lshlrev_b64 v[0:1], 2, v[3:4]
	v_mad_u64_u32 v[2:3], s[4:5], s3, v11, v[2:3]
	v_add_co_u32_e32 v0, vcc, v9, v0
	v_addc_co_u32_e32 v1, vcc, v10, v1, vcc
	v_pack_b32_f16 v3, v8, v24
	v_add_u32_e32 v4, 0x2a0, v17
	global_store_dword v[0:1], v3, off
	v_mov_b32_e32 v6, v2
	v_mad_u64_u32 v[2:3], s[4:5], s2, v4, 0
	v_add_u32_e32 v8, 0x3f0, v17
	v_lshlrev_b64 v[0:1], 2, v[5:6]
	v_mad_u64_u32 v[3:4], s[4:5], s3, v4, v[3:4]
	v_mad_u64_u32 v[4:5], s[4:5], s2, v8, 0
	v_add_co_u32_e32 v0, vcc, v9, v0
	v_addc_co_u32_e32 v1, vcc, v10, v1, vcc
	v_pack_b32_f16 v6, v16, v14
	global_store_dword v[0:1], v6, off
	v_lshlrev_b64 v[0:1], 2, v[2:3]
	v_mov_b32_e32 v2, v5
	v_mad_u64_u32 v[2:3], s[4:5], s3, v8, v[2:3]
	v_add_co_u32_e32 v0, vcc, v9, v0
	v_addc_co_u32_e32 v1, vcc, v10, v1, vcc
	v_pack_b32_f16 v3, v33, v32
	v_mov_b32_e32 v5, v2
	global_store_dword v[0:1], v3, off
	v_lshlrev_b64 v[0:1], 2, v[4:5]
	v_add_u32_e32 v4, 0x540, v17
	v_mad_u64_u32 v[2:3], s[4:5], s2, v4, 0
	v_fma_f16 v44, v27, s6, v44
	v_fma_f16 v44, v38, s0, v44
	v_mad_u64_u32 v[3:4], s[4:5], s3, v4, v[3:4]
	v_add_u32_e32 v4, 0x70, v7
	v_lshrrev_b32_e32 v6, 4, v4
	v_mul_hi_u32 v6, v6, s1
	v_add_co_u32_e32 v0, vcc, v9, v0
	v_addc_co_u32_e32 v1, vcc, v10, v1, vcc
	v_pack_b32_f16 v5, v44, v34
	global_store_dword v[0:1], v5, off
	v_lshlrev_b64 v[0:1], 2, v[2:3]
	v_lshrrev_b32_e32 v2, 1, v6
	v_mul_u32_u24_e32 v3, 0x150, v2
	v_sub_u32_e32 v3, v4, v3
	s_movk_i32 s6, 0x690
	v_mad_u32_u24 v6, v2, s6, v3
	v_mad_u64_u32 v[2:3], s[4:5], s2, v6, 0
	v_add_u32_e32 v11, 0x150, v6
	v_add_co_u32_e32 v0, vcc, v9, v0
	v_mad_u64_u32 v[3:4], s[4:5], s3, v6, v[3:4]
	v_mad_u64_u32 v[4:5], s[4:5], s2, v11, 0
	v_addc_co_u32_e32 v1, vcc, v10, v1, vcc
	v_pack_b32_f16 v8, v28, v15
	global_store_dword v[0:1], v8, off
	v_lshlrev_b64 v[0:1], 2, v[2:3]
	v_mov_b32_e32 v2, v5
	v_mad_u64_u32 v[2:3], s[4:5], s3, v11, v[2:3]
	v_add_co_u32_e32 v0, vcc, v9, v0
	v_addc_co_u32_e32 v1, vcc, v10, v1, vcc
	v_pack_b32_f16 v3, v19, v23
	v_mov_b32_e32 v5, v2
	global_store_dword v[0:1], v3, off
	v_lshlrev_b64 v[0:1], 2, v[4:5]
	v_add_u32_e32 v4, 0x2a0, v6
	v_mad_u64_u32 v[2:3], s[4:5], s2, v4, 0
	v_add_u32_e32 v11, 0x3f0, v6
	v_add_co_u32_e32 v0, vcc, v9, v0
	v_mad_u64_u32 v[3:4], s[4:5], s3, v4, v[3:4]
	v_mad_u64_u32 v[4:5], s[4:5], s2, v11, 0
	v_addc_co_u32_e32 v1, vcc, v10, v1, vcc
	v_pack_b32_f16 v8, v21, v20
	global_store_dword v[0:1], v8, off
	v_lshlrev_b64 v[0:1], 2, v[2:3]
	v_mov_b32_e32 v2, v5
	v_mad_u64_u32 v[2:3], s[4:5], s3, v11, v[2:3]
	v_fma_f16 v43, v48, s0, v43
	v_add_co_u32_e32 v0, vcc, v9, v0
	v_addc_co_u32_e32 v1, vcc, v10, v1, vcc
	v_pack_b32_f16 v3, v43, v41
	v_mov_b32_e32 v5, v2
	global_store_dword v[0:1], v3, off
	v_lshlrev_b64 v[0:1], 2, v[4:5]
	v_add_u32_e32 v4, 0x540, v6
	v_add_u32_e32 v5, 0xe0, v7
	v_mad_u64_u32 v[2:3], s[4:5], s2, v4, 0
	v_lshrrev_b32_e32 v6, 4, v5
	v_mul_hi_u32 v6, v6, s1
	v_fma_f16 v50, v48, s0, v50
	v_mad_u64_u32 v[3:4], s[0:1], s3, v4, v[3:4]
	v_lshrrev_b32_e32 v4, 1, v6
	v_mul_u32_u24_e32 v6, 0x150, v4
	v_sub_u32_e32 v5, v5, v6
	v_mad_u32_u24 v6, v4, s6, v5
	v_mad_u64_u32 v[4:5], s[0:1], s2, v6, 0
	v_add_co_u32_e32 v0, vcc, v9, v0
	v_addc_co_u32_e32 v1, vcc, v10, v1, vcc
	v_pack_b32_f16 v8, v50, v47
	global_store_dword v[0:1], v8, off
	v_lshlrev_b64 v[0:1], 2, v[2:3]
	v_mov_b32_e32 v2, v5
	v_mad_u64_u32 v[2:3], s[0:1], s3, v6, v[2:3]
	v_add_co_u32_e32 v0, vcc, v9, v0
	v_addc_co_u32_e32 v1, vcc, v10, v1, vcc
	v_pack_b32_f16 v3, v37, v22
	v_mov_b32_e32 v5, v2
	global_store_dword v[0:1], v3, off
	v_lshlrev_b64 v[0:1], 2, v[4:5]
	v_add_u32_e32 v4, 0x150, v6
	v_mad_u64_u32 v[2:3], s[0:1], s2, v4, 0
	v_add_u32_e32 v8, 0x2a0, v6
	v_add_co_u32_e32 v0, vcc, v9, v0
	v_mad_u64_u32 v[3:4], s[0:1], s3, v4, v[3:4]
	v_mad_u64_u32 v[4:5], s[0:1], s2, v8, 0
	v_addc_co_u32_e32 v1, vcc, v10, v1, vcc
	v_pack_b32_f16 v7, v18, v12
	global_store_dword v[0:1], v7, off
	v_lshlrev_b64 v[0:1], 2, v[2:3]
	v_mov_b32_e32 v2, v5
	v_mad_u64_u32 v[2:3], s[0:1], s3, v8, v[2:3]
	v_add_co_u32_e32 v0, vcc, v9, v0
	v_addc_co_u32_e32 v1, vcc, v10, v1, vcc
	v_pack_b32_f16 v3, v30, v29
	v_mov_b32_e32 v5, v2
	global_store_dword v[0:1], v3, off
	v_lshlrev_b64 v[0:1], 2, v[4:5]
	v_add_u32_e32 v4, 0x3f0, v6
	v_mad_u64_u32 v[2:3], s[0:1], s2, v4, 0
	v_add_u32_e32 v6, 0x540, v6
	v_add_co_u32_e32 v0, vcc, v9, v0
	v_mad_u64_u32 v[3:4], s[0:1], s3, v4, v[3:4]
	v_mad_u64_u32 v[4:5], s[0:1], s2, v6, 0
	v_addc_co_u32_e32 v1, vcc, v10, v1, vcc
	v_pack_b32_f16 v7, v42, v40
	global_store_dword v[0:1], v7, off
	v_lshlrev_b64 v[0:1], 2, v[2:3]
	v_mov_b32_e32 v2, v5
	v_mad_u64_u32 v[2:3], s[0:1], s3, v6, v[2:3]
	v_add_co_u32_e32 v0, vcc, v9, v0
	v_addc_co_u32_e32 v1, vcc, v10, v1, vcc
	v_pack_b32_f16 v3, v55, v54
	v_mov_b32_e32 v5, v2
	global_store_dword v[0:1], v3, off
	v_lshlrev_b64 v[0:1], 2, v[4:5]
	v_pack_b32_f16 v2, v53, v52
	v_add_co_u32_e32 v0, vcc, v9, v0
	v_addc_co_u32_e32 v1, vcc, v10, v1, vcc
	global_store_dword v[0:1], v2, off
.LBB0_53:
	s_endpgm
	.section	.rodata,"a",@progbits
	.p2align	6, 0x0
	.amdhsa_kernel fft_rtc_back_len1680_factors_2_2_2_2_3_7_5_wgs_112_tpt_112_halfLds_half_op_CI_CI_sbrr_dirReg
		.amdhsa_group_segment_fixed_size 0
		.amdhsa_private_segment_fixed_size 0
		.amdhsa_kernarg_size 104
		.amdhsa_user_sgpr_count 6
		.amdhsa_user_sgpr_private_segment_buffer 1
		.amdhsa_user_sgpr_dispatch_ptr 0
		.amdhsa_user_sgpr_queue_ptr 0
		.amdhsa_user_sgpr_kernarg_segment_ptr 1
		.amdhsa_user_sgpr_dispatch_id 0
		.amdhsa_user_sgpr_flat_scratch_init 0
		.amdhsa_user_sgpr_private_segment_size 0
		.amdhsa_uses_dynamic_stack 0
		.amdhsa_system_sgpr_private_segment_wavefront_offset 0
		.amdhsa_system_sgpr_workgroup_id_x 1
		.amdhsa_system_sgpr_workgroup_id_y 0
		.amdhsa_system_sgpr_workgroup_id_z 0
		.amdhsa_system_sgpr_workgroup_info 0
		.amdhsa_system_vgpr_workitem_id 0
		.amdhsa_next_free_vgpr 76
		.amdhsa_next_free_sgpr 32
		.amdhsa_reserve_vcc 1
		.amdhsa_reserve_flat_scratch 0
		.amdhsa_float_round_mode_32 0
		.amdhsa_float_round_mode_16_64 0
		.amdhsa_float_denorm_mode_32 3
		.amdhsa_float_denorm_mode_16_64 3
		.amdhsa_dx10_clamp 1
		.amdhsa_ieee_mode 1
		.amdhsa_fp16_overflow 0
		.amdhsa_exception_fp_ieee_invalid_op 0
		.amdhsa_exception_fp_denorm_src 0
		.amdhsa_exception_fp_ieee_div_zero 0
		.amdhsa_exception_fp_ieee_overflow 0
		.amdhsa_exception_fp_ieee_underflow 0
		.amdhsa_exception_fp_ieee_inexact 0
		.amdhsa_exception_int_div_zero 0
	.end_amdhsa_kernel
	.text
.Lfunc_end0:
	.size	fft_rtc_back_len1680_factors_2_2_2_2_3_7_5_wgs_112_tpt_112_halfLds_half_op_CI_CI_sbrr_dirReg, .Lfunc_end0-fft_rtc_back_len1680_factors_2_2_2_2_3_7_5_wgs_112_tpt_112_halfLds_half_op_CI_CI_sbrr_dirReg
                                        ; -- End function
	.section	.AMDGPU.csdata,"",@progbits
; Kernel info:
; codeLenInByte = 14132
; NumSgprs: 36
; NumVgprs: 76
; ScratchSize: 0
; MemoryBound: 0
; FloatMode: 240
; IeeeMode: 1
; LDSByteSize: 0 bytes/workgroup (compile time only)
; SGPRBlocks: 4
; VGPRBlocks: 18
; NumSGPRsForWavesPerEU: 36
; NumVGPRsForWavesPerEU: 76
; Occupancy: 3
; WaveLimiterHint : 1
; COMPUTE_PGM_RSRC2:SCRATCH_EN: 0
; COMPUTE_PGM_RSRC2:USER_SGPR: 6
; COMPUTE_PGM_RSRC2:TRAP_HANDLER: 0
; COMPUTE_PGM_RSRC2:TGID_X_EN: 1
; COMPUTE_PGM_RSRC2:TGID_Y_EN: 0
; COMPUTE_PGM_RSRC2:TGID_Z_EN: 0
; COMPUTE_PGM_RSRC2:TIDIG_COMP_CNT: 0
	.type	__hip_cuid_b395e5ac035cc8b7,@object ; @__hip_cuid_b395e5ac035cc8b7
	.section	.bss,"aw",@nobits
	.globl	__hip_cuid_b395e5ac035cc8b7
__hip_cuid_b395e5ac035cc8b7:
	.byte	0                               ; 0x0
	.size	__hip_cuid_b395e5ac035cc8b7, 1

	.ident	"AMD clang version 19.0.0git (https://github.com/RadeonOpenCompute/llvm-project roc-6.4.0 25133 c7fe45cf4b819c5991fe208aaa96edf142730f1d)"
	.section	".note.GNU-stack","",@progbits
	.addrsig
	.addrsig_sym __hip_cuid_b395e5ac035cc8b7
	.amdgpu_metadata
---
amdhsa.kernels:
  - .args:
      - .actual_access:  read_only
        .address_space:  global
        .offset:         0
        .size:           8
        .value_kind:     global_buffer
      - .offset:         8
        .size:           8
        .value_kind:     by_value
      - .actual_access:  read_only
        .address_space:  global
        .offset:         16
        .size:           8
        .value_kind:     global_buffer
      - .actual_access:  read_only
        .address_space:  global
        .offset:         24
        .size:           8
        .value_kind:     global_buffer
      - .actual_access:  read_only
        .address_space:  global
        .offset:         32
        .size:           8
        .value_kind:     global_buffer
      - .offset:         40
        .size:           8
        .value_kind:     by_value
      - .actual_access:  read_only
        .address_space:  global
        .offset:         48
        .size:           8
        .value_kind:     global_buffer
      - .actual_access:  read_only
        .address_space:  global
        .offset:         56
        .size:           8
        .value_kind:     global_buffer
      - .offset:         64
        .size:           4
        .value_kind:     by_value
      - .actual_access:  read_only
        .address_space:  global
        .offset:         72
        .size:           8
        .value_kind:     global_buffer
      - .actual_access:  read_only
        .address_space:  global
        .offset:         80
        .size:           8
        .value_kind:     global_buffer
      - .actual_access:  read_only
        .address_space:  global
        .offset:         88
        .size:           8
        .value_kind:     global_buffer
      - .actual_access:  write_only
        .address_space:  global
        .offset:         96
        .size:           8
        .value_kind:     global_buffer
    .group_segment_fixed_size: 0
    .kernarg_segment_align: 8
    .kernarg_segment_size: 104
    .language:       OpenCL C
    .language_version:
      - 2
      - 0
    .max_flat_workgroup_size: 112
    .name:           fft_rtc_back_len1680_factors_2_2_2_2_3_7_5_wgs_112_tpt_112_halfLds_half_op_CI_CI_sbrr_dirReg
    .private_segment_fixed_size: 0
    .sgpr_count:     36
    .sgpr_spill_count: 0
    .symbol:         fft_rtc_back_len1680_factors_2_2_2_2_3_7_5_wgs_112_tpt_112_halfLds_half_op_CI_CI_sbrr_dirReg.kd
    .uniform_work_group_size: 1
    .uses_dynamic_stack: false
    .vgpr_count:     76
    .vgpr_spill_count: 0
    .wavefront_size: 64
amdhsa.target:   amdgcn-amd-amdhsa--gfx906
amdhsa.version:
  - 1
  - 2
...

	.end_amdgpu_metadata
